;; amdgpu-corpus repo=ROCm/MIOpen kind=compiled arch=gfx1250 opt=O3
	.amdgcn_target "amdgcn-amd-amdhsa--gfx1250"
	.amdhsa_code_object_version 6
	.text
	.protected	SoftMarginLossForward5d ; -- Begin function SoftMarginLossForward5d
	.globl	SoftMarginLossForward5d
	.p2align	8
	.type	SoftMarginLossForward5d,@function
SoftMarginLossForward5d:                ; @SoftMarginLossForward5d
; %bb.0:
	s_clause 0x1
	s_load_b32 s2, s[0:1], 0x11c
	s_load_b256 s[20:27], s[0:1], 0x60
	s_bfe_u32 s4, ttmp6, 0x4000c
	s_clause 0x1
	s_load_b64 s[34:35], s[0:1], 0x90
	s_load_b128 s[28:31], s[0:1], 0x80
	s_add_co_i32 s4, s4, 1
	s_and_b32 s3, ttmp6, 15
	s_mul_i32 s4, ttmp9, s4
	s_getreg_b32 s5, hwreg(HW_REG_IB_STS2, 6, 4)
	s_add_co_i32 s3, s3, s4
	v_mov_b32_e32 v1, 0
                                        ; implicit-def: $vgpr2_vgpr3
	s_wait_kmcnt 0x0
	s_and_b32 s2, s2, 0xffff
	s_cmp_eq_u32 s5, 0
	s_cselect_b32 s3, ttmp9, s3
	s_delay_alu instid0(SALU_CYCLE_1) | instskip(SKIP_1) | instid1(SALU_CYCLE_1)
	v_mad_u32 v0, s3, s2, v0
	s_and_b64 s[2:3], s[22:23], 0xffffffff00000000
	s_cmp_lg_u64 s[2:3], 0
	s_mov_b32 s3, 0
	s_cselect_b32 s2, -1, 0
	s_delay_alu instid0(SALU_CYCLE_1) | instskip(NEXT) | instid1(SALU_CYCLE_1)
	s_and_saveexec_b32 s4, s2
	s_xor_b32 s4, exec_lo, s4
	s_cbranch_execz .LBB0_2
; %bb.1:
	s_cvt_f32_u32 s2, s22
	s_cvt_f32_u32 s5, s23
	s_sub_nc_u64 s[8:9], 0, s[22:23]
	v_mov_b32_e32 v5, v1
	s_delay_alu instid0(SALU_CYCLE_1) | instskip(NEXT) | instid1(SALU_CYCLE_3)
	s_fmamk_f32 s2, s5, 0x4f800000, s2
	v_s_rcp_f32 s2, s2
	s_delay_alu instid0(TRANS32_DEP_1) | instskip(NEXT) | instid1(SALU_CYCLE_3)
	s_mul_f32 s2, s2, 0x5f7ffffc
	s_mul_f32 s5, s2, 0x2f800000
	s_delay_alu instid0(SALU_CYCLE_3) | instskip(NEXT) | instid1(SALU_CYCLE_3)
	s_trunc_f32 s5, s5
	s_fmamk_f32 s2, s5, 0xcf800000, s2
	s_cvt_u32_f32 s7, s5
	s_delay_alu instid0(SALU_CYCLE_2) | instskip(NEXT) | instid1(SALU_CYCLE_3)
	s_cvt_u32_f32 s6, s2
	s_mul_u64 s[10:11], s[8:9], s[6:7]
	s_delay_alu instid0(SALU_CYCLE_1)
	s_mul_hi_u32 s13, s6, s11
	s_mul_i32 s12, s6, s11
	s_mul_hi_u32 s2, s6, s10
	s_mul_i32 s14, s7, s10
	s_add_nc_u64 s[12:13], s[2:3], s[12:13]
	s_mul_hi_u32 s5, s7, s10
	s_mul_hi_u32 s15, s7, s11
	s_add_co_u32 s2, s12, s14
	s_add_co_ci_u32 s2, s13, s5
	s_mul_i32 s10, s7, s11
	s_add_co_ci_u32 s11, s15, 0
	s_delay_alu instid0(SALU_CYCLE_1) | instskip(NEXT) | instid1(SALU_CYCLE_1)
	s_add_nc_u64 s[10:11], s[2:3], s[10:11]
	s_add_co_u32 s6, s6, s10
	s_cselect_b32 s2, -1, 0
	s_delay_alu instid0(SALU_CYCLE_1) | instskip(SKIP_1) | instid1(SALU_CYCLE_1)
	s_cmp_lg_u32 s2, 0
	s_add_co_ci_u32 s7, s7, s11
	s_mul_u64 s[8:9], s[8:9], s[6:7]
	s_delay_alu instid0(SALU_CYCLE_1)
	s_mul_hi_u32 s11, s6, s9
	s_mul_i32 s10, s6, s9
	s_mul_hi_u32 s2, s6, s8
	s_mul_i32 s12, s7, s8
	s_add_nc_u64 s[10:11], s[2:3], s[10:11]
	s_mul_hi_u32 s5, s7, s8
	s_mul_hi_u32 s13, s7, s9
	s_add_co_u32 s2, s10, s12
	s_add_co_ci_u32 s2, s11, s5
	s_mul_i32 s8, s7, s9
	s_add_co_ci_u32 s9, s13, 0
	s_delay_alu instid0(SALU_CYCLE_1) | instskip(NEXT) | instid1(SALU_CYCLE_1)
	s_add_nc_u64 s[8:9], s[2:3], s[8:9]
	s_add_co_u32 s5, s6, s8
	s_cselect_b32 s2, -1, 0
	v_mul_hi_u32 v4, v0, s5
	s_cmp_lg_u32 s2, 0
	s_add_co_ci_u32 s2, s7, s9
	s_delay_alu instid0(SALU_CYCLE_1) | instskip(NEXT) | instid1(VALU_DEP_1)
	v_mul_u64_e32 v[2:3], s[2:3], v[0:1]
	v_add_nc_u64_e32 v[4:5], v[4:5], v[2:3]
	s_delay_alu instid0(VALU_DEP_1) | instskip(NEXT) | instid1(VALU_DEP_1)
	v_dual_mov_b32 v3, v1 :: v_dual_mov_b32 v2, v5
	v_mul_u64_e32 v[6:7], s[22:23], v[2:3]
	s_delay_alu instid0(VALU_DEP_1) | instskip(NEXT) | instid1(VALU_DEP_2)
	v_sub_nc_u32_e32 v4, 0, v7
	v_sub_co_u32 v6, vcc_lo, v0, v6
	s_delay_alu instid0(VALU_DEP_1) | instskip(NEXT) | instid1(VALU_DEP_3)
	v_sub_co_ci_u32_e64 v7, null, 0, v7, vcc_lo
	v_subrev_co_ci_u32_e64 v4, null, s23, v4, vcc_lo
	s_delay_alu instid0(VALU_DEP_3) | instskip(SKIP_1) | instid1(VALU_DEP_3)
	v_sub_co_u32 v10, s2, v6, s22
	v_cmp_le_u32_e32 vcc_lo, s22, v6
	v_subrev_co_ci_u32_e64 v4, null, 0, v4, s2
	s_delay_alu instid0(VALU_DEP_3) | instskip(SKIP_2) | instid1(VALU_DEP_4)
	v_cmp_le_u32_e64 s2, s22, v10
	v_add_nc_u64_e32 v[8:9], 2, v[2:3]
	v_cndmask_b32_e64 v6, 0, -1, vcc_lo
	v_cmp_eq_u32_e32 vcc_lo, s23, v4
	v_add_nc_u64_e32 v[2:3], 1, v[2:3]
	v_cndmask_b32_e64 v10, 0, -1, s2
	v_cmp_le_u32_e64 s2, s23, v4
	s_delay_alu instid0(VALU_DEP_1) | instskip(SKIP_1) | instid1(VALU_DEP_2)
	v_cndmask_b32_e64 v11, 0, -1, s2
	v_cmp_eq_u32_e64 s2, s23, v7
	v_cndmask_b32_e32 v4, v11, v10, vcc_lo
	v_cmp_le_u32_e32 vcc_lo, s23, v7
	v_cndmask_b32_e64 v10, 0, -1, vcc_lo
	s_delay_alu instid0(VALU_DEP_3) | instskip(NEXT) | instid1(VALU_DEP_2)
	v_cmp_ne_u32_e32 vcc_lo, 0, v4
	v_dual_cndmask_b32 v4, v10, v6, s2 :: v_dual_cndmask_b32 v3, v3, v9, vcc_lo
	v_cndmask_b32_e32 v2, v2, v8, vcc_lo
	s_delay_alu instid0(VALU_DEP_2) | instskip(NEXT) | instid1(VALU_DEP_2)
	v_cmp_ne_u32_e32 vcc_lo, 0, v4
	v_dual_cndmask_b32 v3, 0, v3 :: v_dual_cndmask_b32 v2, v5, v2
.LBB0_2:
	s_and_not1_saveexec_b32 s2, s4
	s_cbranch_execz .LBB0_4
; %bb.3:
	v_cvt_f32_u32_e32 v2, s22
	s_sub_co_i32 s3, 0, s22
	s_delay_alu instid0(VALU_DEP_1) | instskip(SKIP_1) | instid1(TRANS32_DEP_1)
	v_rcp_iflag_f32_e32 v2, v2
	v_nop
	v_mul_f32_e32 v2, 0x4f7ffffe, v2
	s_delay_alu instid0(VALU_DEP_1) | instskip(NEXT) | instid1(VALU_DEP_1)
	v_cvt_u32_f32_e32 v2, v2
	v_mul_lo_u32 v3, s3, v2
	s_delay_alu instid0(VALU_DEP_1) | instskip(NEXT) | instid1(VALU_DEP_1)
	v_mul_hi_u32 v3, v2, v3
	v_add_nc_u32_e32 v2, v2, v3
	s_delay_alu instid0(VALU_DEP_1) | instskip(NEXT) | instid1(VALU_DEP_1)
	v_mul_hi_u32 v2, v0, v2
	v_mul_lo_u32 v3, v2, s22
	s_delay_alu instid0(VALU_DEP_1) | instskip(NEXT) | instid1(VALU_DEP_1)
	v_dual_add_nc_u32 v4, 1, v2 :: v_dual_sub_nc_u32 v3, v0, v3
	v_subrev_nc_u32_e32 v5, s22, v3
	v_cmp_le_u32_e32 vcc_lo, s22, v3
	s_delay_alu instid0(VALU_DEP_2) | instskip(NEXT) | instid1(VALU_DEP_1)
	v_dual_cndmask_b32 v3, v3, v5 :: v_dual_cndmask_b32 v2, v2, v4
	v_cmp_le_u32_e32 vcc_lo, s22, v3
	s_delay_alu instid0(VALU_DEP_2) | instskip(NEXT) | instid1(VALU_DEP_1)
	v_dual_mov_b32 v3, 0 :: v_dual_add_nc_u32 v4, 1, v2
	v_cndmask_b32_e32 v2, v2, v4, vcc_lo
.LBB0_4:
	s_or_b32 exec_lo, exec_lo, s2
	s_delay_alu instid0(VALU_DEP_1) | instskip(SKIP_1) | instid1(VALU_DEP_1)
	v_dual_mov_b32 v6, 0 :: v_dual_bitop2_b32 v7, s21, v3 bitop3:0x54
                                        ; implicit-def: $vgpr4_vgpr5
	s_mov_b32 s2, exec_lo
	v_cmpx_ne_u64_e32 0, v[6:7]
	s_xor_b32 s3, exec_lo, s2
	s_cbranch_execz .LBB0_6
; %bb.5:
	s_cvt_f32_u32 s2, s20
	s_cvt_f32_u32 s4, s21
	s_sub_nc_u64 s[6:7], 0, s[20:21]
	s_mov_b32 s11, 0
	v_dual_mov_b32 v4, v2 :: v_dual_mov_b32 v5, v6
	s_fmamk_f32 s2, s4, 0x4f800000, s2
	v_dual_mov_b32 v8, v3 :: v_dual_mov_b32 v9, v6
	v_dual_mov_b32 v13, v6 :: v_dual_mov_b32 v7, v6
	s_delay_alu instid0(SALU_CYCLE_1) | instskip(NEXT) | instid1(TRANS32_DEP_1)
	v_s_rcp_f32 s2, s2
	s_mul_f32 s2, s2, 0x5f7ffffc
	s_delay_alu instid0(SALU_CYCLE_3) | instskip(NEXT) | instid1(SALU_CYCLE_3)
	s_mul_f32 s4, s2, 0x2f800000
	s_trunc_f32 s4, s4
	s_delay_alu instid0(SALU_CYCLE_3) | instskip(SKIP_1) | instid1(SALU_CYCLE_2)
	s_fmamk_f32 s2, s4, 0xcf800000, s2
	s_cvt_u32_f32 s5, s4
	s_cvt_u32_f32 s4, s2
	s_delay_alu instid0(SALU_CYCLE_3) | instskip(NEXT) | instid1(SALU_CYCLE_1)
	s_mul_u64 s[8:9], s[6:7], s[4:5]
	s_mul_hi_u32 s13, s4, s9
	s_mul_i32 s12, s4, s9
	s_mul_hi_u32 s10, s4, s8
	s_mul_i32 s14, s5, s8
	s_add_nc_u64 s[12:13], s[10:11], s[12:13]
	s_mul_hi_u32 s2, s5, s8
	s_mul_hi_u32 s15, s5, s9
	s_mul_i32 s8, s5, s9
	s_add_co_u32 s9, s12, s14
	s_add_co_ci_u32 s10, s13, s2
	s_add_co_ci_u32 s9, s15, 0
	s_delay_alu instid0(SALU_CYCLE_1) | instskip(NEXT) | instid1(SALU_CYCLE_1)
	s_add_nc_u64 s[8:9], s[10:11], s[8:9]
	s_add_co_u32 s4, s4, s8
	s_cselect_b32 s2, -1, 0
	s_delay_alu instid0(SALU_CYCLE_1) | instskip(SKIP_1) | instid1(SALU_CYCLE_1)
	s_cmp_lg_u32 s2, 0
	s_add_co_ci_u32 s5, s5, s9
	s_mul_u64 s[6:7], s[6:7], s[4:5]
	s_delay_alu instid0(SALU_CYCLE_1)
	s_mul_hi_u32 s9, s4, s7
	s_mul_i32 s8, s4, s7
	s_mul_hi_u32 s10, s4, s6
	s_mul_i32 s12, s5, s6
	s_add_nc_u64 s[8:9], s[10:11], s[8:9]
	s_mul_hi_u32 s2, s5, s6
	s_mul_hi_u32 s13, s5, s7
	s_mul_i32 s6, s5, s7
	s_add_co_u32 s7, s8, s12
	s_add_co_ci_u32 s10, s9, s2
	s_add_co_ci_u32 s7, s13, 0
	s_delay_alu instid0(SALU_CYCLE_1) | instskip(NEXT) | instid1(SALU_CYCLE_1)
	s_add_nc_u64 s[6:7], s[10:11], s[6:7]
	s_add_co_u32 s2, s4, s6
	s_cselect_b32 s4, -1, 0
	v_nop
	v_mul_hi_u32 v12, v2, s2
	s_cmp_lg_u32 s4, 0
	s_add_co_ci_u32 s10, s5, s7
	s_mov_b64 s[4:5], 0xffffffff
	v_mul_u64_e32 v[4:5], s[10:11], v[4:5]
	s_and_b64 s[4:5], s[2:3], s[4:5]
	s_delay_alu instid0(SALU_CYCLE_1) | instskip(SKIP_1) | instid1(VALU_DEP_3)
	v_mul_u64_e32 v[10:11], s[4:5], v[8:9]
	v_mul_u64_e32 v[8:9], s[10:11], v[8:9]
	v_add_nc_u64_e32 v[4:5], v[12:13], v[4:5]
	s_delay_alu instid0(VALU_DEP_1) | instskip(NEXT) | instid1(VALU_DEP_2)
	v_add_co_u32 v4, vcc_lo, v4, v10
	v_add_co_ci_u32_e32 v6, vcc_lo, v5, v11, vcc_lo
	s_delay_alu instid0(VALU_DEP_4) | instskip(NEXT) | instid1(VALU_DEP_1)
	v_add_co_ci_u32_e32 v9, vcc_lo, 0, v9, vcc_lo
	v_add_nc_u64_e32 v[4:5], v[6:7], v[8:9]
	s_delay_alu instid0(VALU_DEP_1) | instskip(NEXT) | instid1(VALU_DEP_1)
	v_mul_u64_e32 v[6:7], s[20:21], v[4:5]
	v_sub_nc_u32_e32 v8, v3, v7
	s_delay_alu instid0(VALU_DEP_2) | instskip(NEXT) | instid1(VALU_DEP_1)
	v_sub_co_u32 v6, vcc_lo, v2, v6
	v_sub_co_ci_u32_e64 v13, null, v3, v7, vcc_lo
	s_delay_alu instid0(VALU_DEP_3) | instskip(NEXT) | instid1(VALU_DEP_3)
	v_subrev_co_ci_u32_e64 v8, null, s21, v8, vcc_lo
	v_sub_co_u32 v10, s2, v6, s20
	v_cmp_le_u32_e32 vcc_lo, s20, v6
	s_delay_alu instid0(VALU_DEP_3) | instskip(NEXT) | instid1(VALU_DEP_3)
	v_subrev_co_ci_u32_e64 v11, null, 0, v8, s2
	v_cmp_le_u32_e64 s2, s20, v10
	v_add_nc_u64_e32 v[8:9], 2, v[4:5]
	v_cndmask_b32_e64 v14, 0, -1, vcc_lo
	s_delay_alu instid0(VALU_DEP_4) | instskip(SKIP_3) | instid1(VALU_DEP_1)
	v_cmp_eq_u32_e32 vcc_lo, s21, v11
	v_add_nc_u64_e32 v[6:7], 1, v[4:5]
	v_cndmask_b32_e64 v10, 0, -1, s2
	v_cmp_le_u32_e64 s2, s21, v11
	v_cndmask_b32_e64 v12, 0, -1, s2
	v_cmp_eq_u32_e64 s2, s21, v13
	s_delay_alu instid0(VALU_DEP_2) | instskip(SKIP_2) | instid1(VALU_DEP_3)
	v_cndmask_b32_e32 v10, v12, v10, vcc_lo
	v_cmp_le_u32_e32 vcc_lo, s21, v13
	v_cndmask_b32_e64 v11, 0, -1, vcc_lo
	v_cmp_ne_u32_e32 vcc_lo, 0, v10
	s_delay_alu instid0(VALU_DEP_2) | instskip(SKIP_1) | instid1(VALU_DEP_2)
	v_dual_cndmask_b32 v10, v11, v14, s2 :: v_dual_cndmask_b32 v6, v6, v8, vcc_lo
	v_cndmask_b32_e32 v7, v7, v9, vcc_lo
	v_cmp_ne_u32_e32 vcc_lo, 0, v10
	s_delay_alu instid0(VALU_DEP_2)
	v_dual_cndmask_b32 v4, v4, v6 :: v_dual_cndmask_b32 v5, v5, v7
.LBB0_6:
	s_or_saveexec_b32 s2, s3
	s_load_b512 s[4:19], s[0:1], 0x20
	s_xor_b32 exec_lo, exec_lo, s2
	s_cbranch_execz .LBB0_8
; %bb.7:
	v_cvt_f32_u32_e32 v4, s20
	s_sub_co_i32 s3, 0, s20
	s_delay_alu instid0(VALU_DEP_1) | instskip(SKIP_1) | instid1(TRANS32_DEP_1)
	v_rcp_iflag_f32_e32 v4, v4
	v_nop
	v_mul_f32_e32 v4, 0x4f7ffffe, v4
	s_delay_alu instid0(VALU_DEP_1) | instskip(NEXT) | instid1(VALU_DEP_1)
	v_cvt_u32_f32_e32 v4, v4
	v_mul_lo_u32 v5, s3, v4
	s_delay_alu instid0(VALU_DEP_1) | instskip(NEXT) | instid1(VALU_DEP_1)
	v_mul_hi_u32 v5, v4, v5
	v_add_nc_u32_e32 v4, v4, v5
	s_delay_alu instid0(VALU_DEP_1) | instskip(NEXT) | instid1(VALU_DEP_1)
	v_mul_hi_u32 v4, v2, v4
	v_mul_lo_u32 v5, v4, s20
	s_delay_alu instid0(VALU_DEP_1) | instskip(NEXT) | instid1(VALU_DEP_1)
	v_dual_add_nc_u32 v6, 1, v4 :: v_dual_sub_nc_u32 v5, v2, v5
	v_subrev_nc_u32_e32 v7, s20, v5
	v_cmp_le_u32_e32 vcc_lo, s20, v5
	s_delay_alu instid0(VALU_DEP_2) | instskip(NEXT) | instid1(VALU_DEP_1)
	v_dual_cndmask_b32 v5, v5, v7 :: v_dual_cndmask_b32 v4, v4, v6
	v_cmp_le_u32_e32 vcc_lo, s20, v5
	s_delay_alu instid0(VALU_DEP_2) | instskip(NEXT) | instid1(VALU_DEP_1)
	v_dual_mov_b32 v5, 0 :: v_dual_add_nc_u32 v6, 1, v4
	v_cndmask_b32_e32 v4, v4, v6, vcc_lo
.LBB0_8:
	s_or_b32 exec_lo, exec_lo, s2
	s_wait_kmcnt 0x0
	s_delay_alu instid0(VALU_DEP_2) | instskip(SKIP_1) | instid1(VALU_DEP_1)
	v_dual_mov_b32 v6, 0 :: v_dual_bitop2_b32 v7, s19, v5 bitop3:0x54
                                        ; implicit-def: $vgpr8_vgpr9
	s_mov_b32 s2, exec_lo
	v_cmpx_ne_u64_e32 0, v[6:7]
	s_xor_b32 s3, exec_lo, s2
	s_cbranch_execz .LBB0_10
; %bb.9:
	s_cvt_f32_u32 s2, s18
	s_cvt_f32_u32 s33, s19
	s_sub_nc_u64 s[38:39], 0, s[18:19]
	s_mov_b32 s43, 0
	v_dual_mov_b32 v8, v4 :: v_dual_mov_b32 v9, v6
	s_fmamk_f32 s2, s33, 0x4f800000, s2
	v_dual_mov_b32 v10, v5 :: v_dual_mov_b32 v11, v6
	v_dual_mov_b32 v15, v6 :: v_dual_mov_b32 v7, v6
	s_delay_alu instid0(SALU_CYCLE_1) | instskip(NEXT) | instid1(TRANS32_DEP_1)
	v_s_rcp_f32 s2, s2
	s_mul_f32 s2, s2, 0x5f7ffffc
	s_delay_alu instid0(SALU_CYCLE_3) | instskip(NEXT) | instid1(SALU_CYCLE_3)
	s_mul_f32 s33, s2, 0x2f800000
	s_trunc_f32 s33, s33
	s_delay_alu instid0(SALU_CYCLE_3) | instskip(SKIP_1) | instid1(SALU_CYCLE_2)
	s_fmamk_f32 s2, s33, 0xcf800000, s2
	s_cvt_u32_f32 s37, s33
	s_cvt_u32_f32 s36, s2
	s_delay_alu instid0(SALU_CYCLE_3) | instskip(NEXT) | instid1(SALU_CYCLE_1)
	s_mul_u64 s[40:41], s[38:39], s[36:37]
	s_mul_hi_u32 s45, s36, s41
	s_mul_i32 s44, s36, s41
	s_mul_hi_u32 s42, s36, s40
	s_mul_i32 s33, s37, s40
	s_add_nc_u64 s[44:45], s[42:43], s[44:45]
	s_mul_hi_u32 s2, s37, s40
	s_mul_hi_u32 s46, s37, s41
	s_add_co_u32 s33, s44, s33
	s_add_co_ci_u32 s42, s45, s2
	s_mul_i32 s40, s37, s41
	s_add_co_ci_u32 s41, s46, 0
	s_delay_alu instid0(SALU_CYCLE_1) | instskip(NEXT) | instid1(SALU_CYCLE_1)
	s_add_nc_u64 s[40:41], s[42:43], s[40:41]
	s_add_co_u32 s36, s36, s40
	s_cselect_b32 s2, -1, 0
	s_delay_alu instid0(SALU_CYCLE_1) | instskip(SKIP_1) | instid1(SALU_CYCLE_1)
	s_cmp_lg_u32 s2, 0
	s_add_co_ci_u32 s37, s37, s41
	s_mul_u64 s[38:39], s[38:39], s[36:37]
	s_delay_alu instid0(SALU_CYCLE_1)
	s_mul_hi_u32 s41, s36, s39
	s_mul_i32 s40, s36, s39
	s_mul_hi_u32 s42, s36, s38
	s_mul_i32 s33, s37, s38
	s_add_nc_u64 s[40:41], s[42:43], s[40:41]
	s_mul_hi_u32 s2, s37, s38
	s_mul_hi_u32 s44, s37, s39
	s_add_co_u32 s33, s40, s33
	s_add_co_ci_u32 s42, s41, s2
	s_mul_i32 s38, s37, s39
	s_add_co_ci_u32 s39, s44, 0
	s_delay_alu instid0(SALU_CYCLE_1) | instskip(NEXT) | instid1(SALU_CYCLE_1)
	s_add_nc_u64 s[38:39], s[42:43], s[38:39]
	s_add_co_u32 s2, s36, s38
	s_cselect_b32 s33, -1, 0
	v_nop
	v_mul_hi_u32 v14, v4, s2
	s_cmp_lg_u32 s33, 0
	s_add_co_ci_u32 s42, s37, s39
	s_mov_b64 s[36:37], 0xffffffff
	v_mul_u64_e32 v[8:9], s[42:43], v[8:9]
	s_and_b64 s[36:37], s[2:3], s[36:37]
	s_delay_alu instid0(SALU_CYCLE_1) | instskip(SKIP_1) | instid1(VALU_DEP_3)
	v_mul_u64_e32 v[12:13], s[36:37], v[10:11]
	v_mul_u64_e32 v[10:11], s[42:43], v[10:11]
	v_add_nc_u64_e32 v[8:9], v[14:15], v[8:9]
	s_delay_alu instid0(VALU_DEP_1) | instskip(NEXT) | instid1(VALU_DEP_2)
	v_add_co_u32 v6, vcc_lo, v8, v12
	v_add_co_ci_u32_e32 v6, vcc_lo, v9, v13, vcc_lo
	s_delay_alu instid0(VALU_DEP_4) | instskip(NEXT) | instid1(VALU_DEP_1)
	v_add_co_ci_u32_e32 v11, vcc_lo, 0, v11, vcc_lo
	v_add_nc_u64_e32 v[6:7], v[6:7], v[10:11]
	s_delay_alu instid0(VALU_DEP_1) | instskip(NEXT) | instid1(VALU_DEP_1)
	v_mul_u64_e32 v[8:9], s[18:19], v[6:7]
	v_sub_nc_u32_e32 v10, v5, v9
	s_delay_alu instid0(VALU_DEP_2) | instskip(NEXT) | instid1(VALU_DEP_1)
	v_sub_co_u32 v8, vcc_lo, v4, v8
	v_sub_co_ci_u32_e64 v15, null, v5, v9, vcc_lo
	s_delay_alu instid0(VALU_DEP_3) | instskip(NEXT) | instid1(VALU_DEP_3)
	v_subrev_co_ci_u32_e64 v10, null, s19, v10, vcc_lo
	v_sub_co_u32 v12, s2, v8, s18
	v_cmp_le_u32_e32 vcc_lo, s18, v8
	s_delay_alu instid0(VALU_DEP_3) | instskip(NEXT) | instid1(VALU_DEP_3)
	v_subrev_co_ci_u32_e64 v13, null, 0, v10, s2
	v_cmp_le_u32_e64 s2, s18, v12
	v_add_nc_u64_e32 v[10:11], 2, v[6:7]
	v_cndmask_b32_e64 v16, 0, -1, vcc_lo
	s_delay_alu instid0(VALU_DEP_4) | instskip(SKIP_3) | instid1(VALU_DEP_1)
	v_cmp_eq_u32_e32 vcc_lo, s19, v13
	v_add_nc_u64_e32 v[8:9], 1, v[6:7]
	v_cndmask_b32_e64 v12, 0, -1, s2
	v_cmp_le_u32_e64 s2, s19, v13
	v_cndmask_b32_e64 v14, 0, -1, s2
	v_cmp_eq_u32_e64 s2, s19, v15
	s_delay_alu instid0(VALU_DEP_2) | instskip(SKIP_2) | instid1(VALU_DEP_3)
	v_cndmask_b32_e32 v12, v14, v12, vcc_lo
	v_cmp_le_u32_e32 vcc_lo, s19, v15
	v_cndmask_b32_e64 v13, 0, -1, vcc_lo
	v_cmp_ne_u32_e32 vcc_lo, 0, v12
	s_delay_alu instid0(VALU_DEP_2) | instskip(SKIP_1) | instid1(VALU_DEP_2)
	v_dual_cndmask_b32 v12, v13, v16, s2 :: v_dual_cndmask_b32 v8, v8, v10, vcc_lo
	v_cndmask_b32_e32 v9, v9, v11, vcc_lo
	v_cmp_ne_u32_e32 vcc_lo, 0, v12
	s_delay_alu instid0(VALU_DEP_2)
	v_dual_cndmask_b32 v8, v6, v8 :: v_dual_cndmask_b32 v9, v7, v9
.LBB0_10:
	s_and_not1_saveexec_b32 s2, s3
	s_cbranch_execz .LBB0_12
; %bb.11:
	v_cvt_f32_u32_e32 v6, s18
	s_sub_co_i32 s3, 0, s18
	s_delay_alu instid0(VALU_DEP_1) | instskip(SKIP_1) | instid1(TRANS32_DEP_1)
	v_rcp_iflag_f32_e32 v6, v6
	v_nop
	v_mul_f32_e32 v6, 0x4f7ffffe, v6
	s_delay_alu instid0(VALU_DEP_1) | instskip(NEXT) | instid1(VALU_DEP_1)
	v_cvt_u32_f32_e32 v6, v6
	v_mul_lo_u32 v7, s3, v6
	s_delay_alu instid0(VALU_DEP_1) | instskip(NEXT) | instid1(VALU_DEP_1)
	v_mul_hi_u32 v7, v6, v7
	v_add_nc_u32_e32 v6, v6, v7
	s_delay_alu instid0(VALU_DEP_1) | instskip(NEXT) | instid1(VALU_DEP_1)
	v_mul_hi_u32 v6, v4, v6
	v_mul_lo_u32 v7, v6, s18
	s_delay_alu instid0(VALU_DEP_1) | instskip(NEXT) | instid1(VALU_DEP_1)
	v_dual_add_nc_u32 v8, 1, v6 :: v_dual_sub_nc_u32 v7, v4, v7
	v_subrev_nc_u32_e32 v9, s18, v7
	v_cmp_le_u32_e32 vcc_lo, s18, v7
	s_delay_alu instid0(VALU_DEP_2) | instskip(NEXT) | instid1(VALU_DEP_4)
	v_dual_cndmask_b32 v7, v7, v9, vcc_lo :: v_dual_mov_b32 v9, 0
	v_cndmask_b32_e32 v6, v6, v8, vcc_lo
	s_delay_alu instid0(VALU_DEP_2) | instskip(NEXT) | instid1(VALU_DEP_2)
	v_cmp_le_u32_e32 vcc_lo, s18, v7
	v_add_nc_u32_e32 v8, 1, v6
	s_delay_alu instid0(VALU_DEP_1)
	v_cndmask_b32_e32 v8, v6, v8, vcc_lo
.LBB0_12:
	s_or_b32 exec_lo, exec_lo, s2
	s_delay_alu instid0(VALU_DEP_1) | instskip(SKIP_1) | instid1(VALU_DEP_1)
	v_dual_mov_b32 v10, 0 :: v_dual_bitop2_b32 v11, s17, v9 bitop3:0x54
                                        ; implicit-def: $vgpr6_vgpr7
	s_mov_b32 s2, exec_lo
	v_cmpx_ne_u64_e32 0, v[10:11]
	s_xor_b32 s3, exec_lo, s2
	s_cbranch_execnz .LBB0_16
; %bb.13:
	s_and_not1_saveexec_b32 s2, s3
	s_cbranch_execnz .LBB0_17
.LBB0_14:
	s_or_b32 exec_lo, exec_lo, s2
	s_delay_alu instid0(SALU_CYCLE_1)
	s_mov_b32 s2, exec_lo
	v_cmpx_gt_u64_e64 s[14:15], v[6:7]
	s_cbranch_execnz .LBB0_18
.LBB0_15:
	s_endpgm
.LBB0_16:
	s_cvt_f32_u32 s2, s16
	s_cvt_f32_u32 s33, s17
	s_sub_nc_u64 s[38:39], 0, s[16:17]
	s_mov_b32 s43, 0
	v_dual_mov_b32 v6, v8 :: v_dual_mov_b32 v7, v10
	s_fmamk_f32 s2, s33, 0x4f800000, s2
	v_dual_mov_b32 v12, v9 :: v_dual_mov_b32 v13, v10
	v_dual_mov_b32 v17, v10 :: v_dual_mov_b32 v11, v10
	s_delay_alu instid0(SALU_CYCLE_1) | instskip(NEXT) | instid1(TRANS32_DEP_1)
	v_s_rcp_f32 s2, s2
	s_mul_f32 s2, s2, 0x5f7ffffc
	s_delay_alu instid0(SALU_CYCLE_3) | instskip(NEXT) | instid1(SALU_CYCLE_3)
	s_mul_f32 s33, s2, 0x2f800000
	s_trunc_f32 s33, s33
	s_delay_alu instid0(SALU_CYCLE_3) | instskip(SKIP_1) | instid1(SALU_CYCLE_2)
	s_fmamk_f32 s2, s33, 0xcf800000, s2
	s_cvt_u32_f32 s37, s33
	s_cvt_u32_f32 s36, s2
	s_delay_alu instid0(SALU_CYCLE_3) | instskip(NEXT) | instid1(SALU_CYCLE_1)
	s_mul_u64 s[40:41], s[38:39], s[36:37]
	s_mul_hi_u32 s45, s36, s41
	s_mul_i32 s44, s36, s41
	s_mul_hi_u32 s42, s36, s40
	s_mul_i32 s33, s37, s40
	s_add_nc_u64 s[44:45], s[42:43], s[44:45]
	s_mul_hi_u32 s2, s37, s40
	s_mul_hi_u32 s46, s37, s41
	s_add_co_u32 s33, s44, s33
	s_add_co_ci_u32 s42, s45, s2
	s_mul_i32 s40, s37, s41
	s_add_co_ci_u32 s41, s46, 0
	s_delay_alu instid0(SALU_CYCLE_1) | instskip(NEXT) | instid1(SALU_CYCLE_1)
	s_add_nc_u64 s[40:41], s[42:43], s[40:41]
	s_add_co_u32 s36, s36, s40
	s_cselect_b32 s2, -1, 0
	s_delay_alu instid0(SALU_CYCLE_1) | instskip(SKIP_1) | instid1(SALU_CYCLE_1)
	s_cmp_lg_u32 s2, 0
	s_add_co_ci_u32 s37, s37, s41
	s_mul_u64 s[38:39], s[38:39], s[36:37]
	s_delay_alu instid0(SALU_CYCLE_1)
	s_mul_hi_u32 s41, s36, s39
	s_mul_i32 s40, s36, s39
	s_mul_hi_u32 s42, s36, s38
	s_mul_i32 s33, s37, s38
	s_add_nc_u64 s[40:41], s[42:43], s[40:41]
	s_mul_hi_u32 s2, s37, s38
	s_mul_hi_u32 s44, s37, s39
	s_add_co_u32 s33, s40, s33
	s_add_co_ci_u32 s42, s41, s2
	s_mul_i32 s38, s37, s39
	s_add_co_ci_u32 s39, s44, 0
	s_delay_alu instid0(SALU_CYCLE_1) | instskip(NEXT) | instid1(SALU_CYCLE_1)
	s_add_nc_u64 s[38:39], s[42:43], s[38:39]
	s_add_co_u32 s2, s36, s38
	s_cselect_b32 s33, -1, 0
	v_nop
	v_mul_hi_u32 v16, v8, s2
	s_cmp_lg_u32 s33, 0
	s_add_co_ci_u32 s42, s37, s39
	s_mov_b64 s[36:37], 0xffffffff
	v_mul_u64_e32 v[6:7], s[42:43], v[6:7]
	s_and_b64 s[36:37], s[2:3], s[36:37]
	s_delay_alu instid0(SALU_CYCLE_1) | instskip(SKIP_1) | instid1(VALU_DEP_3)
	v_mul_u64_e32 v[14:15], s[36:37], v[12:13]
	v_mul_u64_e32 v[12:13], s[42:43], v[12:13]
	v_add_nc_u64_e32 v[6:7], v[16:17], v[6:7]
	s_delay_alu instid0(VALU_DEP_1) | instskip(NEXT) | instid1(VALU_DEP_2)
	v_add_co_u32 v6, vcc_lo, v6, v14
	v_add_co_ci_u32_e32 v10, vcc_lo, v7, v15, vcc_lo
	s_delay_alu instid0(VALU_DEP_4) | instskip(NEXT) | instid1(VALU_DEP_1)
	v_add_co_ci_u32_e32 v13, vcc_lo, 0, v13, vcc_lo
	v_add_nc_u64_e32 v[6:7], v[10:11], v[12:13]
	s_delay_alu instid0(VALU_DEP_1) | instskip(NEXT) | instid1(VALU_DEP_1)
	v_mul_u64_e32 v[10:11], s[16:17], v[6:7]
	v_sub_nc_u32_e32 v12, v9, v11
	s_delay_alu instid0(VALU_DEP_2) | instskip(NEXT) | instid1(VALU_DEP_1)
	v_sub_co_u32 v10, vcc_lo, v8, v10
	v_sub_co_ci_u32_e64 v17, null, v9, v11, vcc_lo
	s_delay_alu instid0(VALU_DEP_3) | instskip(NEXT) | instid1(VALU_DEP_3)
	v_subrev_co_ci_u32_e64 v12, null, s17, v12, vcc_lo
	v_sub_co_u32 v14, s2, v10, s16
	v_cmp_le_u32_e32 vcc_lo, s16, v10
	s_delay_alu instid0(VALU_DEP_3) | instskip(NEXT) | instid1(VALU_DEP_3)
	v_subrev_co_ci_u32_e64 v15, null, 0, v12, s2
	v_cmp_le_u32_e64 s2, s16, v14
	v_add_nc_u64_e32 v[12:13], 2, v[6:7]
	v_cndmask_b32_e64 v18, 0, -1, vcc_lo
	s_delay_alu instid0(VALU_DEP_4) | instskip(SKIP_3) | instid1(VALU_DEP_1)
	v_cmp_eq_u32_e32 vcc_lo, s17, v15
	v_add_nc_u64_e32 v[10:11], 1, v[6:7]
	v_cndmask_b32_e64 v14, 0, -1, s2
	v_cmp_le_u32_e64 s2, s17, v15
	v_cndmask_b32_e64 v16, 0, -1, s2
	v_cmp_eq_u32_e64 s2, s17, v17
	s_delay_alu instid0(VALU_DEP_2) | instskip(SKIP_2) | instid1(VALU_DEP_3)
	v_cndmask_b32_e32 v14, v16, v14, vcc_lo
	v_cmp_le_u32_e32 vcc_lo, s17, v17
	v_cndmask_b32_e64 v15, 0, -1, vcc_lo
	v_cmp_ne_u32_e32 vcc_lo, 0, v14
	s_delay_alu instid0(VALU_DEP_2) | instskip(SKIP_1) | instid1(VALU_DEP_2)
	v_dual_cndmask_b32 v14, v15, v18, s2 :: v_dual_cndmask_b32 v10, v10, v12, vcc_lo
	v_cndmask_b32_e32 v11, v11, v13, vcc_lo
	v_cmp_ne_u32_e32 vcc_lo, 0, v14
	s_delay_alu instid0(VALU_DEP_2)
	v_dual_cndmask_b32 v6, v6, v10 :: v_dual_cndmask_b32 v7, v7, v11
	s_and_not1_saveexec_b32 s2, s3
	s_cbranch_execz .LBB0_14
.LBB0_17:
	v_cvt_f32_u32_e32 v6, s16
	s_sub_co_i32 s3, 0, s16
	s_delay_alu instid0(VALU_DEP_1) | instskip(SKIP_1) | instid1(TRANS32_DEP_1)
	v_rcp_iflag_f32_e32 v6, v6
	v_nop
	v_mul_f32_e32 v6, 0x4f7ffffe, v6
	s_delay_alu instid0(VALU_DEP_1) | instskip(NEXT) | instid1(VALU_DEP_1)
	v_cvt_u32_f32_e32 v6, v6
	v_mul_lo_u32 v7, s3, v6
	s_delay_alu instid0(VALU_DEP_1) | instskip(NEXT) | instid1(VALU_DEP_1)
	v_mul_hi_u32 v7, v6, v7
	v_add_nc_u32_e32 v6, v6, v7
	s_delay_alu instid0(VALU_DEP_1) | instskip(NEXT) | instid1(VALU_DEP_1)
	v_mul_hi_u32 v6, v8, v6
	v_mul_lo_u32 v7, v6, s16
	s_delay_alu instid0(VALU_DEP_1) | instskip(NEXT) | instid1(VALU_DEP_1)
	v_sub_nc_u32_e32 v7, v8, v7
	v_subrev_nc_u32_e32 v11, s16, v7
	v_cmp_le_u32_e32 vcc_lo, s16, v7
	s_delay_alu instid0(VALU_DEP_2) | instskip(NEXT) | instid1(VALU_DEP_1)
	v_dual_cndmask_b32 v7, v7, v11 :: v_dual_add_nc_u32 v10, 1, v6
	v_cndmask_b32_e32 v6, v6, v10, vcc_lo
	s_delay_alu instid0(VALU_DEP_2) | instskip(NEXT) | instid1(VALU_DEP_2)
	v_cmp_le_u32_e32 vcc_lo, s16, v7
	v_dual_mov_b32 v7, 0 :: v_dual_add_nc_u32 v10, 1, v6
	s_delay_alu instid0(VALU_DEP_1) | instskip(SKIP_1) | instid1(SALU_CYCLE_1)
	v_cndmask_b32_e32 v6, v6, v10, vcc_lo
	s_or_b32 exec_lo, exec_lo, s2
	s_mov_b32 s2, exec_lo
	s_delay_alu instid0(VALU_DEP_1)
	v_cmpx_gt_u64_e64 s[14:15], v[6:7]
	s_cbranch_execz .LBB0_15
.LBB0_18:
	v_mul_u64_e32 v[10:11], s[22:23], v[2:3]
	v_mul_u64_e32 v[12:13], s[20:21], v[4:5]
	;; [unrolled: 1-line block ×6, first 2 shown]
	s_mov_b32 s4, 0x3e9b6dac
	s_load_b64 s[2:3], s[0:1], 0x10
	v_sub_nc_u64_e32 v[10:11], v[0:1], v[10:11]
	v_sub_nc_u64_e32 v[0:1], v[2:3], v[12:13]
	;; [unrolled: 1-line block ×4, first 2 shown]
	s_delay_alu instid0(VALU_DEP_4)
	v_mul_u64_e32 v[12:13], s[12:13], v[10:11]
	v_mul_u64_e32 v[18:19], s[34:35], v[10:11]
	;; [unrolled: 1-line block ×6, first 2 shown]
	s_load_b128 s[8:11], s[0:1], 0x0
	v_mul_u64_e32 v[22:23], s[6:7], v[2:3]
	v_mul_u64_e32 v[24:25], s[26:27], v[2:3]
	s_load_b64 s[12:13], s[0:1], 0xe0
	s_wait_kmcnt 0x0
	v_mul_u64_e32 v[10:11], s[12:13], v[10:11]
	v_lshl_add_u64 v[12:13], v[12:13], 2, s[8:9]
	v_lshl_add_u64 v[18:19], v[18:19], 2, s[10:11]
	s_delay_alu instid0(VALU_DEP_2) | instskip(NEXT) | instid1(VALU_DEP_2)
	v_lshl_add_u64 v[12:13], v[14:15], 2, v[12:13]
	v_lshl_add_u64 v[14:15], v[20:21], 2, v[18:19]
	s_delay_alu instid0(VALU_DEP_2) | instskip(NEXT) | instid1(VALU_DEP_2)
	;; [unrolled: 3-line block ×4, first 2 shown]
	v_lshl_add_u64 v[8:9], v[26:27], 2, v[8:9]
	v_lshl_add_u64 v[12:13], v[28:29], 2, v[12:13]
	global_load_b32 v14, v[8:9], off
	global_load_b32 v15, v[12:13], off
	s_wait_loadcnt 0x0
	v_mul_f32_e64 v8, v15, -v14
	s_delay_alu instid0(VALU_DEP_1) | instskip(NEXT) | instid1(VALU_DEP_1)
	v_mul_f32_e32 v9, 0x3fb8aa3b, v8
	v_fma_f32 v12, 0x3fb8aa3b, v8, -v9
	v_rndne_f32_e32 v13, v9
	s_delay_alu instid0(VALU_DEP_1) | instskip(SKIP_1) | instid1(VALU_DEP_4)
	v_sub_f32_e32 v9, v9, v13
	v_cmp_ngt_f32_e32 vcc_lo, 0xc2ce8ed0, v8
	v_fmamk_f32 v12, v8, 0x32a5705f, v12
	s_delay_alu instid0(VALU_DEP_1) | instskip(SKIP_1) | instid1(VALU_DEP_2)
	v_add_f32_e32 v9, v9, v12
	v_cvt_i32_f32_e32 v12, v13
	v_exp_f32_e32 v9, v9
	v_nop
	s_delay_alu instid0(TRANS32_DEP_1) | instskip(NEXT) | instid1(VALU_DEP_1)
	v_ldexp_f32 v9, v9, v12
	v_cndmask_b32_e32 v9, 0, v9, vcc_lo
	v_cmp_nlt_f32_e32 vcc_lo, 0x42b17218, v8
	s_delay_alu instid0(VALU_DEP_2) | instskip(NEXT) | instid1(VALU_DEP_1)
	v_cndmask_b32_e32 v26, 0x7f800000, v9, vcc_lo
	v_add_f32_e32 v12, 1.0, v26
	s_delay_alu instid0(VALU_DEP_1) | instskip(NEXT) | instid1(VALU_DEP_1)
	v_cvt_f64_f32_e32 v[8:9], v12
	v_frexp_exp_i32_f64_e32 v8, v[8:9]
	v_frexp_mant_f32_e32 v9, v12
	s_delay_alu instid0(VALU_DEP_1) | instskip(NEXT) | instid1(VALU_DEP_3)
	v_cmp_gt_f32_e32 vcc_lo, 0x3f2aaaab, v9
	v_subrev_co_ci_u32_e64 v16, null, 0, v8, vcc_lo
	v_add_f32_e32 v8, -1.0, v12
	s_delay_alu instid0(VALU_DEP_2) | instskip(SKIP_1) | instid1(VALU_DEP_3)
	v_sub_nc_u32_e32 v9, 0, v16
	v_cmp_neq_f32_e32 vcc_lo, 0x7f800000, v26
	v_sub_f32_e32 v13, v8, v12
	s_delay_alu instid0(VALU_DEP_3) | instskip(NEXT) | instid1(VALU_DEP_1)
	v_ldexp_f32 v12, v12, v9
	v_add_f32_e32 v14, 1.0, v12
	s_delay_alu instid0(VALU_DEP_3) | instskip(NEXT) | instid1(VALU_DEP_1)
	v_dual_sub_f32 v8, v26, v8 :: v_dual_add_f32 v13, 1.0, v13
	v_dual_add_f32 v8, v8, v13 :: v_dual_add_f32 v13, -1.0, v14
	v_add_f32_e32 v15, -1.0, v12
	s_delay_alu instid0(VALU_DEP_2) | instskip(NEXT) | instid1(VALU_DEP_2)
	v_ldexp_f32 v8, v8, v9
	v_dual_sub_f32 v9, v12, v13 :: v_dual_add_f32 v13, 1.0, v15
	s_delay_alu instid0(VALU_DEP_1) | instskip(NEXT) | instid1(VALU_DEP_1)
	v_add_f32_e32 v17, v8, v9
	v_add_f32_e32 v18, v14, v17
	s_delay_alu instid0(VALU_DEP_3) | instskip(NEXT) | instid1(VALU_DEP_1)
	v_sub_f32_e32 v9, v12, v13
	v_add_f32_e32 v19, v8, v9
	s_delay_alu instid0(VALU_DEP_1) | instskip(NEXT) | instid1(VALU_DEP_4)
	v_add_f32_e32 v9, v15, v19
	v_rcp_f32_e32 v20, v18
	s_delay_alu instid0(VALU_DEP_1) | instskip(NEXT) | instid1(VALU_DEP_1)
	v_dual_sub_f32 v8, v14, v18 :: v_dual_sub_f32 v22, v15, v9
	v_add_f32_e32 v17, v17, v8
	s_delay_alu instid0(TRANS32_DEP_1) | instskip(NEXT) | instid1(VALU_DEP_1)
	v_mul_f32_e32 v21, v9, v20
	v_mul_f32_e32 v12, v18, v21
	s_delay_alu instid0(VALU_DEP_1) | instskip(NEXT) | instid1(VALU_DEP_1)
	v_fma_f32 v14, v21, v18, -v12
	v_fmac_f32_e32 v14, v21, v17
	s_delay_alu instid0(VALU_DEP_1) | instskip(NEXT) | instid1(VALU_DEP_1)
	v_add_f32_e32 v8, v12, v14
	v_dual_sub_f32 v13, v9, v8 :: v_dual_mov_b32 v15, v8
	s_delay_alu instid0(VALU_DEP_1) | instskip(SKIP_1) | instid1(VALU_DEP_2)
	v_pk_add_f32 v[8:9], v[8:9], v[12:13] neg_lo:[0,1] neg_hi:[0,1]
	v_add_f32_e32 v12, v19, v22
	v_pk_add_f32 v[8:9], v[8:9], v[14:15] neg_lo:[0,1] neg_hi:[0,1]
	s_delay_alu instid0(VALU_DEP_1) | instskip(NEXT) | instid1(VALU_DEP_1)
	v_add_f32_e32 v9, v12, v9
	v_add_f32_e32 v19, v8, v9
	s_delay_alu instid0(VALU_DEP_1) | instskip(NEXT) | instid1(VALU_DEP_1)
	v_add_f32_e32 v9, v13, v19
	v_mul_f32_e32 v22, v20, v9
	s_delay_alu instid0(VALU_DEP_1) | instskip(NEXT) | instid1(VALU_DEP_1)
	v_mul_f32_e32 v14, v18, v22
	v_fma_f32 v12, v22, v18, -v14
	s_delay_alu instid0(VALU_DEP_1) | instskip(NEXT) | instid1(VALU_DEP_1)
	v_fmac_f32_e32 v12, v22, v17
	v_dual_add_f32 v8, v14, v12 :: v_dual_sub_f32 v17, v13, v9
	s_delay_alu instid0(VALU_DEP_1) | instskip(NEXT) | instid1(VALU_DEP_1)
	v_dual_mov_b32 v13, v8 :: v_dual_sub_f32 v15, v9, v8
	v_pk_add_f32 v[8:9], v[8:9], v[14:15] neg_lo:[0,1] neg_hi:[0,1]
	s_delay_alu instid0(VALU_DEP_3) | instskip(NEXT) | instid1(VALU_DEP_2)
	v_add_f32_e32 v14, v19, v17
	v_pk_add_f32 v[8:9], v[8:9], v[12:13] neg_lo:[0,1] neg_hi:[0,1]
	v_cvt_f32_i32_e32 v12, v16
	s_delay_alu instid0(VALU_DEP_2) | instskip(NEXT) | instid1(VALU_DEP_1)
	v_dual_add_f32 v9, v14, v9 :: v_dual_add_f32 v14, v21, v22
	v_add_f32_e32 v8, v8, v9
	s_delay_alu instid0(VALU_DEP_2) | instskip(NEXT) | instid1(VALU_DEP_1)
	v_sub_f32_e32 v9, v14, v21
	v_dual_sub_f32 v9, v22, v9 :: v_dual_add_f32 v8, v15, v8
	s_delay_alu instid0(VALU_DEP_1) | instskip(NEXT) | instid1(VALU_DEP_1)
	v_mul_f32_e32 v8, v20, v8
	v_dual_add_f32 v17, v9, v8 :: v_dual_mov_b32 v8, 0x3f317218
	s_delay_alu instid0(VALU_DEP_1) | instskip(NEXT) | instid1(VALU_DEP_1)
	v_add_f32_e32 v15, v14, v17
	v_mul_f32_e32 v9, v15, v15
	s_delay_alu instid0(VALU_DEP_1) | instskip(SKIP_1) | instid1(VALU_DEP_1)
	v_dual_fmaak_f32 v18, s4, v9, 0x3ecc95a3 :: v_dual_mul_f32 v13, v15, v9
	s_load_b256 s[4:11], s[0:1], 0xc0
	v_fmaak_f32 v9, v9, v18, 0x3f2aaada
	s_delay_alu instid0(VALU_DEP_1) | instskip(SKIP_1) | instid1(VALU_DEP_2)
	v_pk_mul_f32 v[8:9], v[12:13], v[8:9]
	v_ldexp_f32 v13, v15, 1
	v_fma_f32 v16, 0x3f317218, v12, -v8
	s_delay_alu instid0(VALU_DEP_1)
	v_fmamk_f32 v12, v12, 0xb102e308, v16
	v_sub_f32_e32 v16, v15, v14
	s_wait_kmcnt 0x0
	v_mul_u64_e32 v[0:1], s[10:11], v[0:1]
	v_mul_u64_e32 v[4:5], s[8:9], v[4:5]
	;; [unrolled: 1-line block ×3, first 2 shown]
	v_pk_add_f32 v[14:15], v[8:9], v[12:13]
	v_mul_u64_e32 v[6:7], s[4:5], v[6:7]
	s_delay_alu instid0(VALU_DEP_2) | instskip(NEXT) | instid1(VALU_DEP_1)
	v_dual_sub_f32 v13, v15, v13 :: v_dual_mov_b32 v24, v15
	v_sub_f32_e32 v13, v9, v13
	v_sub_f32_e32 v16, v17, v16
	s_delay_alu instid0(VALU_DEP_1) | instskip(SKIP_2) | instid1(VALU_DEP_3)
	v_ldexp_f32 v17, v16, 1
	v_mov_b32_e32 v16, v8
	v_pk_add_f32 v[8:9], v[14:15], v[8:9] neg_lo:[0,1] neg_hi:[0,1]
	v_add_f32_e32 v17, v17, v13
	s_delay_alu instid0(VALU_DEP_1) | instskip(NEXT) | instid1(VALU_DEP_1)
	v_pk_add_f32 v[18:19], v[14:15], v[16:17]
	v_dual_mov_b32 v13, v14 :: v_dual_mov_b32 v9, v19
	s_delay_alu instid0(VALU_DEP_1) | instskip(SKIP_1) | instid1(VALU_DEP_2)
	v_pk_add_f32 v[20:21], v[12:13], v[8:9]
	v_pk_add_f32 v[8:9], v[12:13], v[8:9] neg_lo:[0,1] neg_hi:[0,1]
	v_dual_mov_b32 v16, v21 :: v_dual_mov_b32 v9, v21
	s_delay_alu instid0(VALU_DEP_1) | instskip(SKIP_1) | instid1(VALU_DEP_2)
	v_pk_add_f32 v[22:23], v[16:17], v[14:15] neg_lo:[0,1] neg_hi:[0,1]
	v_dual_mov_b32 v20, v19 :: v_dual_mov_b32 v15, v14
	v_dual_mov_b32 v14, v17 :: v_dual_mov_b32 v25, v22
	v_mov_b32_e32 v17, v22
	s_delay_alu instid0(VALU_DEP_2) | instskip(NEXT) | instid1(VALU_DEP_2)
	v_pk_add_f32 v[12:13], v[20:21], v[24:25] neg_lo:[0,1] neg_hi:[0,1]
	v_pk_add_f32 v[18:19], v[18:19], v[16:17] neg_lo:[0,1] neg_hi:[0,1]
	v_mov_b32_e32 v18, v8
	s_delay_alu instid0(VALU_DEP_3) | instskip(NEXT) | instid1(VALU_DEP_1)
	v_pk_add_f32 v[12:13], v[14:15], v[12:13] neg_lo:[0,1] neg_hi:[0,1]
	v_pk_add_f32 v[14:15], v[18:19], v[12:13]
	s_delay_alu instid0(VALU_DEP_1) | instskip(NEXT) | instid1(VALU_DEP_1)
	v_mov_b32_e32 v18, v15
	v_pk_add_f32 v[18:19], v[14:15], v[18:19]
	s_delay_alu instid0(VALU_DEP_1) | instskip(NEXT) | instid1(VALU_DEP_1)
	v_pk_add_f32 v[16:17], v[16:17], v[18:19]
	v_dual_mov_b32 v13, v18 :: v_dual_mov_b32 v15, v16
	s_delay_alu instid0(VALU_DEP_1) | instskip(NEXT) | instid1(VALU_DEP_1)
	v_pk_add_f32 v[20:21], v[14:15], v[8:9] neg_lo:[0,1] neg_hi:[0,1]
	v_pk_add_f32 v[12:13], v[12:13], v[20:21] neg_lo:[0,1] neg_hi:[0,1]
	v_sub_f32_e32 v9, v14, v20
	s_delay_alu instid0(VALU_DEP_1) | instskip(NEXT) | instid1(VALU_DEP_1)
	v_sub_f32_e32 v8, v8, v9
	v_add_f32_e32 v12, v12, v8
	v_lshl_add_u64 v[8:9], v[10:11], 2, s[2:3]
	s_delay_alu instid0(VALU_DEP_2) | instskip(NEXT) | instid1(VALU_DEP_2)
	v_add_f32_e32 v10, v12, v13
	v_lshl_add_u64 v[0:1], v[0:1], 2, v[8:9]
	s_delay_alu instid0(VALU_DEP_2) | instskip(NEXT) | instid1(VALU_DEP_2)
	;; [unrolled: 3-line block ×3, first 2 shown]
	v_cndmask_b32_e32 v4, 0x7f800000, v8, vcc_lo
	v_lshl_add_u64 v[0:1], v[2:3], 2, v[0:1]
	v_cmp_gt_f32_e64 vcc_lo, 0x33800000, |v26|
	s_delay_alu instid0(VALU_DEP_2) | instskip(NEXT) | instid1(VALU_DEP_4)
	v_lshl_add_u64 v[0:1], v[6:7], 2, v[0:1]
	v_cndmask_b32_e32 v2, v4, v26, vcc_lo
	global_store_b32 v[0:1], v2, off
	s_endpgm
	.section	.rodata,"a",@progbits
	.p2align	6, 0x0
	.amdhsa_kernel SoftMarginLossForward5d
		.amdhsa_group_segment_fixed_size 0
		.amdhsa_private_segment_fixed_size 0
		.amdhsa_kernarg_size 528
		.amdhsa_user_sgpr_count 2
		.amdhsa_user_sgpr_dispatch_ptr 0
		.amdhsa_user_sgpr_queue_ptr 0
		.amdhsa_user_sgpr_kernarg_segment_ptr 1
		.amdhsa_user_sgpr_dispatch_id 0
		.amdhsa_user_sgpr_kernarg_preload_length 0
		.amdhsa_user_sgpr_kernarg_preload_offset 0
		.amdhsa_user_sgpr_private_segment_size 0
		.amdhsa_wavefront_size32 1
		.amdhsa_uses_dynamic_stack 0
		.amdhsa_enable_private_segment 0
		.amdhsa_system_sgpr_workgroup_id_x 1
		.amdhsa_system_sgpr_workgroup_id_y 0
		.amdhsa_system_sgpr_workgroup_id_z 0
		.amdhsa_system_sgpr_workgroup_info 0
		.amdhsa_system_vgpr_workitem_id 0
		.amdhsa_next_free_vgpr 30
		.amdhsa_next_free_sgpr 47
		.amdhsa_named_barrier_count 0
		.amdhsa_reserve_vcc 1
		.amdhsa_float_round_mode_32 0
		.amdhsa_float_round_mode_16_64 0
		.amdhsa_float_denorm_mode_32 3
		.amdhsa_float_denorm_mode_16_64 3
		.amdhsa_fp16_overflow 0
		.amdhsa_memory_ordered 1
		.amdhsa_forward_progress 1
		.amdhsa_inst_pref_size 33
		.amdhsa_round_robin_scheduling 0
		.amdhsa_exception_fp_ieee_invalid_op 0
		.amdhsa_exception_fp_denorm_src 0
		.amdhsa_exception_fp_ieee_div_zero 0
		.amdhsa_exception_fp_ieee_overflow 0
		.amdhsa_exception_fp_ieee_underflow 0
		.amdhsa_exception_fp_ieee_inexact 0
		.amdhsa_exception_int_div_zero 0
	.end_amdhsa_kernel
	.text
.Lfunc_end0:
	.size	SoftMarginLossForward5d, .Lfunc_end0-SoftMarginLossForward5d
                                        ; -- End function
	.set SoftMarginLossForward5d.num_vgpr, 30
	.set SoftMarginLossForward5d.num_agpr, 0
	.set SoftMarginLossForward5d.numbered_sgpr, 47
	.set SoftMarginLossForward5d.num_named_barrier, 0
	.set SoftMarginLossForward5d.private_seg_size, 0
	.set SoftMarginLossForward5d.uses_vcc, 1
	.set SoftMarginLossForward5d.uses_flat_scratch, 0
	.set SoftMarginLossForward5d.has_dyn_sized_stack, 0
	.set SoftMarginLossForward5d.has_recursion, 0
	.set SoftMarginLossForward5d.has_indirect_call, 0
	.section	.AMDGPU.csdata,"",@progbits
; Kernel info:
; codeLenInByte = 4196
; TotalNumSgprs: 49
; NumVgprs: 30
; ScratchSize: 0
; MemoryBound: 0
; FloatMode: 240
; IeeeMode: 1
; LDSByteSize: 0 bytes/workgroup (compile time only)
; SGPRBlocks: 0
; VGPRBlocks: 1
; NumSGPRsForWavesPerEU: 49
; NumVGPRsForWavesPerEU: 30
; NamedBarCnt: 0
; Occupancy: 16
; WaveLimiterHint : 1
; COMPUTE_PGM_RSRC2:SCRATCH_EN: 0
; COMPUTE_PGM_RSRC2:USER_SGPR: 2
; COMPUTE_PGM_RSRC2:TRAP_HANDLER: 0
; COMPUTE_PGM_RSRC2:TGID_X_EN: 1
; COMPUTE_PGM_RSRC2:TGID_Y_EN: 0
; COMPUTE_PGM_RSRC2:TGID_Z_EN: 0
; COMPUTE_PGM_RSRC2:TIDIG_COMP_CNT: 0
	.text
	.protected	SoftMarginLossBackward5d ; -- Begin function SoftMarginLossBackward5d
	.globl	SoftMarginLossBackward5d
	.p2align	8
	.type	SoftMarginLossBackward5d,@function
SoftMarginLossBackward5d:               ; @SoftMarginLossBackward5d
; %bb.0:
	s_clause 0x1
	s_load_b32 s2, s[0:1], 0x174
	s_load_b256 s[20:27], s[0:1], 0x68
	s_bfe_u32 s4, ttmp6, 0x4000c
	s_clause 0x1
	s_load_b64 s[34:35], s[0:1], 0x98
	s_load_b128 s[28:31], s[0:1], 0x88
	s_add_co_i32 s4, s4, 1
	s_and_b32 s3, ttmp6, 15
	s_mul_i32 s4, ttmp9, s4
	s_getreg_b32 s5, hwreg(HW_REG_IB_STS2, 6, 4)
	s_add_co_i32 s3, s3, s4
	v_mov_b32_e32 v1, 0
                                        ; implicit-def: $vgpr2_vgpr3
	s_wait_kmcnt 0x0
	s_and_b32 s2, s2, 0xffff
	s_cmp_eq_u32 s5, 0
	s_cselect_b32 s3, ttmp9, s3
	s_delay_alu instid0(SALU_CYCLE_1) | instskip(SKIP_1) | instid1(SALU_CYCLE_1)
	v_mad_u32 v0, s3, s2, v0
	s_and_b64 s[2:3], s[22:23], 0xffffffff00000000
	s_cmp_lg_u64 s[2:3], 0
	s_mov_b32 s3, 0
	s_cselect_b32 s2, -1, 0
	s_delay_alu instid0(SALU_CYCLE_1) | instskip(NEXT) | instid1(SALU_CYCLE_1)
	s_and_saveexec_b32 s4, s2
	s_xor_b32 s4, exec_lo, s4
	s_cbranch_execz .LBB1_2
; %bb.1:
	s_cvt_f32_u32 s2, s22
	s_cvt_f32_u32 s5, s23
	s_sub_nc_u64 s[8:9], 0, s[22:23]
	v_mov_b32_e32 v5, v1
	s_delay_alu instid0(SALU_CYCLE_1) | instskip(NEXT) | instid1(SALU_CYCLE_3)
	s_fmamk_f32 s2, s5, 0x4f800000, s2
	v_s_rcp_f32 s2, s2
	s_delay_alu instid0(TRANS32_DEP_1) | instskip(NEXT) | instid1(SALU_CYCLE_3)
	s_mul_f32 s2, s2, 0x5f7ffffc
	s_mul_f32 s5, s2, 0x2f800000
	s_delay_alu instid0(SALU_CYCLE_3) | instskip(NEXT) | instid1(SALU_CYCLE_3)
	s_trunc_f32 s5, s5
	s_fmamk_f32 s2, s5, 0xcf800000, s2
	s_cvt_u32_f32 s7, s5
	s_delay_alu instid0(SALU_CYCLE_2) | instskip(NEXT) | instid1(SALU_CYCLE_3)
	s_cvt_u32_f32 s6, s2
	s_mul_u64 s[10:11], s[8:9], s[6:7]
	s_delay_alu instid0(SALU_CYCLE_1)
	s_mul_hi_u32 s13, s6, s11
	s_mul_i32 s12, s6, s11
	s_mul_hi_u32 s2, s6, s10
	s_mul_i32 s14, s7, s10
	s_add_nc_u64 s[12:13], s[2:3], s[12:13]
	s_mul_hi_u32 s5, s7, s10
	s_mul_hi_u32 s15, s7, s11
	s_add_co_u32 s2, s12, s14
	s_add_co_ci_u32 s2, s13, s5
	s_mul_i32 s10, s7, s11
	s_add_co_ci_u32 s11, s15, 0
	s_delay_alu instid0(SALU_CYCLE_1) | instskip(NEXT) | instid1(SALU_CYCLE_1)
	s_add_nc_u64 s[10:11], s[2:3], s[10:11]
	s_add_co_u32 s6, s6, s10
	s_cselect_b32 s2, -1, 0
	s_delay_alu instid0(SALU_CYCLE_1) | instskip(SKIP_1) | instid1(SALU_CYCLE_1)
	s_cmp_lg_u32 s2, 0
	s_add_co_ci_u32 s7, s7, s11
	s_mul_u64 s[8:9], s[8:9], s[6:7]
	s_delay_alu instid0(SALU_CYCLE_1)
	s_mul_hi_u32 s11, s6, s9
	s_mul_i32 s10, s6, s9
	s_mul_hi_u32 s2, s6, s8
	s_mul_i32 s12, s7, s8
	s_add_nc_u64 s[10:11], s[2:3], s[10:11]
	s_mul_hi_u32 s5, s7, s8
	s_mul_hi_u32 s13, s7, s9
	s_add_co_u32 s2, s10, s12
	s_add_co_ci_u32 s2, s11, s5
	s_mul_i32 s8, s7, s9
	s_add_co_ci_u32 s9, s13, 0
	s_delay_alu instid0(SALU_CYCLE_1) | instskip(NEXT) | instid1(SALU_CYCLE_1)
	s_add_nc_u64 s[8:9], s[2:3], s[8:9]
	s_add_co_u32 s5, s6, s8
	s_cselect_b32 s2, -1, 0
	v_mul_hi_u32 v4, v0, s5
	s_cmp_lg_u32 s2, 0
	s_add_co_ci_u32 s2, s7, s9
	s_delay_alu instid0(SALU_CYCLE_1) | instskip(NEXT) | instid1(VALU_DEP_1)
	v_mul_u64_e32 v[2:3], s[2:3], v[0:1]
	v_add_nc_u64_e32 v[4:5], v[4:5], v[2:3]
	s_delay_alu instid0(VALU_DEP_1) | instskip(NEXT) | instid1(VALU_DEP_1)
	v_dual_mov_b32 v3, v1 :: v_dual_mov_b32 v2, v5
	v_mul_u64_e32 v[6:7], s[22:23], v[2:3]
	s_delay_alu instid0(VALU_DEP_1) | instskip(NEXT) | instid1(VALU_DEP_2)
	v_sub_nc_u32_e32 v4, 0, v7
	v_sub_co_u32 v6, vcc_lo, v0, v6
	s_delay_alu instid0(VALU_DEP_1) | instskip(NEXT) | instid1(VALU_DEP_3)
	v_sub_co_ci_u32_e64 v7, null, 0, v7, vcc_lo
	v_subrev_co_ci_u32_e64 v4, null, s23, v4, vcc_lo
	s_delay_alu instid0(VALU_DEP_3) | instskip(SKIP_1) | instid1(VALU_DEP_3)
	v_sub_co_u32 v10, s2, v6, s22
	v_cmp_le_u32_e32 vcc_lo, s22, v6
	v_subrev_co_ci_u32_e64 v4, null, 0, v4, s2
	s_delay_alu instid0(VALU_DEP_3) | instskip(SKIP_2) | instid1(VALU_DEP_4)
	v_cmp_le_u32_e64 s2, s22, v10
	v_add_nc_u64_e32 v[8:9], 2, v[2:3]
	v_cndmask_b32_e64 v6, 0, -1, vcc_lo
	v_cmp_eq_u32_e32 vcc_lo, s23, v4
	v_add_nc_u64_e32 v[2:3], 1, v[2:3]
	v_cndmask_b32_e64 v10, 0, -1, s2
	v_cmp_le_u32_e64 s2, s23, v4
	s_delay_alu instid0(VALU_DEP_1) | instskip(SKIP_1) | instid1(VALU_DEP_2)
	v_cndmask_b32_e64 v11, 0, -1, s2
	v_cmp_eq_u32_e64 s2, s23, v7
	v_cndmask_b32_e32 v4, v11, v10, vcc_lo
	v_cmp_le_u32_e32 vcc_lo, s23, v7
	v_cndmask_b32_e64 v10, 0, -1, vcc_lo
	s_delay_alu instid0(VALU_DEP_3) | instskip(NEXT) | instid1(VALU_DEP_2)
	v_cmp_ne_u32_e32 vcc_lo, 0, v4
	v_dual_cndmask_b32 v4, v10, v6, s2 :: v_dual_cndmask_b32 v3, v3, v9, vcc_lo
	v_cndmask_b32_e32 v2, v2, v8, vcc_lo
	s_delay_alu instid0(VALU_DEP_2) | instskip(NEXT) | instid1(VALU_DEP_2)
	v_cmp_ne_u32_e32 vcc_lo, 0, v4
	v_dual_cndmask_b32 v3, 0, v3 :: v_dual_cndmask_b32 v2, v5, v2
.LBB1_2:
	s_and_not1_saveexec_b32 s2, s4
	s_cbranch_execz .LBB1_4
; %bb.3:
	v_cvt_f32_u32_e32 v2, s22
	s_sub_co_i32 s3, 0, s22
	s_delay_alu instid0(VALU_DEP_1) | instskip(SKIP_1) | instid1(TRANS32_DEP_1)
	v_rcp_iflag_f32_e32 v2, v2
	v_nop
	v_mul_f32_e32 v2, 0x4f7ffffe, v2
	s_delay_alu instid0(VALU_DEP_1) | instskip(NEXT) | instid1(VALU_DEP_1)
	v_cvt_u32_f32_e32 v2, v2
	v_mul_lo_u32 v3, s3, v2
	s_delay_alu instid0(VALU_DEP_1) | instskip(NEXT) | instid1(VALU_DEP_1)
	v_mul_hi_u32 v3, v2, v3
	v_add_nc_u32_e32 v2, v2, v3
	s_delay_alu instid0(VALU_DEP_1) | instskip(NEXT) | instid1(VALU_DEP_1)
	v_mul_hi_u32 v2, v0, v2
	v_mul_lo_u32 v3, v2, s22
	s_delay_alu instid0(VALU_DEP_1) | instskip(NEXT) | instid1(VALU_DEP_1)
	v_dual_add_nc_u32 v4, 1, v2 :: v_dual_sub_nc_u32 v3, v0, v3
	v_subrev_nc_u32_e32 v5, s22, v3
	v_cmp_le_u32_e32 vcc_lo, s22, v3
	s_delay_alu instid0(VALU_DEP_2) | instskip(NEXT) | instid1(VALU_DEP_1)
	v_dual_cndmask_b32 v3, v3, v5 :: v_dual_cndmask_b32 v2, v2, v4
	v_cmp_le_u32_e32 vcc_lo, s22, v3
	s_delay_alu instid0(VALU_DEP_2) | instskip(NEXT) | instid1(VALU_DEP_1)
	v_dual_mov_b32 v3, 0 :: v_dual_add_nc_u32 v4, 1, v2
	v_cndmask_b32_e32 v2, v2, v4, vcc_lo
.LBB1_4:
	s_or_b32 exec_lo, exec_lo, s2
	s_delay_alu instid0(VALU_DEP_1) | instskip(SKIP_1) | instid1(VALU_DEP_1)
	v_dual_mov_b32 v6, 0 :: v_dual_bitop2_b32 v7, s21, v3 bitop3:0x54
                                        ; implicit-def: $vgpr4_vgpr5
	s_mov_b32 s2, exec_lo
	v_cmpx_ne_u64_e32 0, v[6:7]
	s_xor_b32 s3, exec_lo, s2
	s_cbranch_execz .LBB1_6
; %bb.5:
	s_cvt_f32_u32 s2, s20
	s_cvt_f32_u32 s4, s21
	s_sub_nc_u64 s[6:7], 0, s[20:21]
	s_mov_b32 s11, 0
	v_dual_mov_b32 v4, v2 :: v_dual_mov_b32 v5, v6
	s_fmamk_f32 s2, s4, 0x4f800000, s2
	v_dual_mov_b32 v8, v3 :: v_dual_mov_b32 v9, v6
	v_dual_mov_b32 v13, v6 :: v_dual_mov_b32 v7, v6
	s_delay_alu instid0(SALU_CYCLE_1) | instskip(NEXT) | instid1(TRANS32_DEP_1)
	v_s_rcp_f32 s2, s2
	s_mul_f32 s2, s2, 0x5f7ffffc
	s_delay_alu instid0(SALU_CYCLE_3) | instskip(NEXT) | instid1(SALU_CYCLE_3)
	s_mul_f32 s4, s2, 0x2f800000
	s_trunc_f32 s4, s4
	s_delay_alu instid0(SALU_CYCLE_3) | instskip(SKIP_1) | instid1(SALU_CYCLE_2)
	s_fmamk_f32 s2, s4, 0xcf800000, s2
	s_cvt_u32_f32 s5, s4
	s_cvt_u32_f32 s4, s2
	s_delay_alu instid0(SALU_CYCLE_3) | instskip(NEXT) | instid1(SALU_CYCLE_1)
	s_mul_u64 s[8:9], s[6:7], s[4:5]
	s_mul_hi_u32 s13, s4, s9
	s_mul_i32 s12, s4, s9
	s_mul_hi_u32 s10, s4, s8
	s_mul_i32 s14, s5, s8
	s_add_nc_u64 s[12:13], s[10:11], s[12:13]
	s_mul_hi_u32 s2, s5, s8
	s_mul_hi_u32 s15, s5, s9
	s_mul_i32 s8, s5, s9
	s_add_co_u32 s9, s12, s14
	s_add_co_ci_u32 s10, s13, s2
	s_add_co_ci_u32 s9, s15, 0
	s_delay_alu instid0(SALU_CYCLE_1) | instskip(NEXT) | instid1(SALU_CYCLE_1)
	s_add_nc_u64 s[8:9], s[10:11], s[8:9]
	s_add_co_u32 s4, s4, s8
	s_cselect_b32 s2, -1, 0
	s_delay_alu instid0(SALU_CYCLE_1) | instskip(SKIP_1) | instid1(SALU_CYCLE_1)
	s_cmp_lg_u32 s2, 0
	s_add_co_ci_u32 s5, s5, s9
	s_mul_u64 s[6:7], s[6:7], s[4:5]
	s_delay_alu instid0(SALU_CYCLE_1)
	s_mul_hi_u32 s9, s4, s7
	s_mul_i32 s8, s4, s7
	s_mul_hi_u32 s10, s4, s6
	s_mul_i32 s12, s5, s6
	s_add_nc_u64 s[8:9], s[10:11], s[8:9]
	s_mul_hi_u32 s2, s5, s6
	s_mul_hi_u32 s13, s5, s7
	s_mul_i32 s6, s5, s7
	s_add_co_u32 s7, s8, s12
	s_add_co_ci_u32 s10, s9, s2
	s_add_co_ci_u32 s7, s13, 0
	s_delay_alu instid0(SALU_CYCLE_1) | instskip(NEXT) | instid1(SALU_CYCLE_1)
	s_add_nc_u64 s[6:7], s[10:11], s[6:7]
	s_add_co_u32 s2, s4, s6
	s_cselect_b32 s4, -1, 0
	v_nop
	v_mul_hi_u32 v12, v2, s2
	s_cmp_lg_u32 s4, 0
	s_add_co_ci_u32 s10, s5, s7
	s_mov_b64 s[4:5], 0xffffffff
	v_mul_u64_e32 v[4:5], s[10:11], v[4:5]
	s_and_b64 s[4:5], s[2:3], s[4:5]
	s_delay_alu instid0(SALU_CYCLE_1) | instskip(SKIP_1) | instid1(VALU_DEP_3)
	v_mul_u64_e32 v[10:11], s[4:5], v[8:9]
	v_mul_u64_e32 v[8:9], s[10:11], v[8:9]
	v_add_nc_u64_e32 v[4:5], v[12:13], v[4:5]
	s_delay_alu instid0(VALU_DEP_1) | instskip(NEXT) | instid1(VALU_DEP_2)
	v_add_co_u32 v4, vcc_lo, v4, v10
	v_add_co_ci_u32_e32 v6, vcc_lo, v5, v11, vcc_lo
	s_delay_alu instid0(VALU_DEP_4) | instskip(NEXT) | instid1(VALU_DEP_1)
	v_add_co_ci_u32_e32 v9, vcc_lo, 0, v9, vcc_lo
	v_add_nc_u64_e32 v[4:5], v[6:7], v[8:9]
	s_delay_alu instid0(VALU_DEP_1) | instskip(NEXT) | instid1(VALU_DEP_1)
	v_mul_u64_e32 v[6:7], s[20:21], v[4:5]
	v_sub_nc_u32_e32 v8, v3, v7
	s_delay_alu instid0(VALU_DEP_2) | instskip(NEXT) | instid1(VALU_DEP_1)
	v_sub_co_u32 v6, vcc_lo, v2, v6
	v_sub_co_ci_u32_e64 v13, null, v3, v7, vcc_lo
	s_delay_alu instid0(VALU_DEP_3) | instskip(NEXT) | instid1(VALU_DEP_3)
	v_subrev_co_ci_u32_e64 v8, null, s21, v8, vcc_lo
	v_sub_co_u32 v10, s2, v6, s20
	v_cmp_le_u32_e32 vcc_lo, s20, v6
	s_delay_alu instid0(VALU_DEP_3) | instskip(NEXT) | instid1(VALU_DEP_3)
	v_subrev_co_ci_u32_e64 v11, null, 0, v8, s2
	v_cmp_le_u32_e64 s2, s20, v10
	v_add_nc_u64_e32 v[8:9], 2, v[4:5]
	v_cndmask_b32_e64 v14, 0, -1, vcc_lo
	s_delay_alu instid0(VALU_DEP_4) | instskip(SKIP_3) | instid1(VALU_DEP_1)
	v_cmp_eq_u32_e32 vcc_lo, s21, v11
	v_add_nc_u64_e32 v[6:7], 1, v[4:5]
	v_cndmask_b32_e64 v10, 0, -1, s2
	v_cmp_le_u32_e64 s2, s21, v11
	v_cndmask_b32_e64 v12, 0, -1, s2
	v_cmp_eq_u32_e64 s2, s21, v13
	s_delay_alu instid0(VALU_DEP_2) | instskip(SKIP_2) | instid1(VALU_DEP_3)
	v_cndmask_b32_e32 v10, v12, v10, vcc_lo
	v_cmp_le_u32_e32 vcc_lo, s21, v13
	v_cndmask_b32_e64 v11, 0, -1, vcc_lo
	v_cmp_ne_u32_e32 vcc_lo, 0, v10
	s_delay_alu instid0(VALU_DEP_2) | instskip(SKIP_1) | instid1(VALU_DEP_2)
	v_dual_cndmask_b32 v10, v11, v14, s2 :: v_dual_cndmask_b32 v6, v6, v8, vcc_lo
	v_cndmask_b32_e32 v7, v7, v9, vcc_lo
	v_cmp_ne_u32_e32 vcc_lo, 0, v10
	s_delay_alu instid0(VALU_DEP_2)
	v_dual_cndmask_b32 v4, v4, v6 :: v_dual_cndmask_b32 v5, v5, v7
.LBB1_6:
	s_or_saveexec_b32 s2, s3
	s_load_b512 s[4:19], s[0:1], 0x28
	s_xor_b32 exec_lo, exec_lo, s2
	s_cbranch_execz .LBB1_8
; %bb.7:
	v_cvt_f32_u32_e32 v4, s20
	s_sub_co_i32 s3, 0, s20
	s_delay_alu instid0(VALU_DEP_1) | instskip(SKIP_1) | instid1(TRANS32_DEP_1)
	v_rcp_iflag_f32_e32 v4, v4
	v_nop
	v_mul_f32_e32 v4, 0x4f7ffffe, v4
	s_delay_alu instid0(VALU_DEP_1) | instskip(NEXT) | instid1(VALU_DEP_1)
	v_cvt_u32_f32_e32 v4, v4
	v_mul_lo_u32 v5, s3, v4
	s_delay_alu instid0(VALU_DEP_1) | instskip(NEXT) | instid1(VALU_DEP_1)
	v_mul_hi_u32 v5, v4, v5
	v_add_nc_u32_e32 v4, v4, v5
	s_delay_alu instid0(VALU_DEP_1) | instskip(NEXT) | instid1(VALU_DEP_1)
	v_mul_hi_u32 v4, v2, v4
	v_mul_lo_u32 v5, v4, s20
	s_delay_alu instid0(VALU_DEP_1) | instskip(NEXT) | instid1(VALU_DEP_1)
	v_dual_add_nc_u32 v6, 1, v4 :: v_dual_sub_nc_u32 v5, v2, v5
	v_subrev_nc_u32_e32 v7, s20, v5
	v_cmp_le_u32_e32 vcc_lo, s20, v5
	s_delay_alu instid0(VALU_DEP_2) | instskip(NEXT) | instid1(VALU_DEP_1)
	v_dual_cndmask_b32 v5, v5, v7 :: v_dual_cndmask_b32 v4, v4, v6
	v_cmp_le_u32_e32 vcc_lo, s20, v5
	s_delay_alu instid0(VALU_DEP_2) | instskip(NEXT) | instid1(VALU_DEP_1)
	v_dual_mov_b32 v5, 0 :: v_dual_add_nc_u32 v6, 1, v4
	v_cndmask_b32_e32 v4, v4, v6, vcc_lo
.LBB1_8:
	s_or_b32 exec_lo, exec_lo, s2
	s_wait_kmcnt 0x0
	s_delay_alu instid0(VALU_DEP_2) | instskip(SKIP_1) | instid1(VALU_DEP_1)
	v_dual_mov_b32 v8, 0 :: v_dual_bitop2_b32 v9, s19, v5 bitop3:0x54
                                        ; implicit-def: $vgpr6_vgpr7
	s_mov_b32 s2, exec_lo
	v_cmpx_ne_u64_e32 0, v[8:9]
	s_xor_b32 s3, exec_lo, s2
	s_cbranch_execz .LBB1_10
; %bb.9:
	s_cvt_f32_u32 s2, s18
	s_cvt_f32_u32 s33, s19
	s_sub_nc_u64 s[38:39], 0, s[18:19]
	s_mov_b32 s43, 0
	v_dual_mov_b32 v6, v4 :: v_dual_mov_b32 v7, v8
	s_fmamk_f32 s2, s33, 0x4f800000, s2
	v_dual_mov_b32 v10, v5 :: v_dual_mov_b32 v11, v8
	v_dual_mov_b32 v15, v8 :: v_dual_mov_b32 v9, v8
	s_delay_alu instid0(SALU_CYCLE_1) | instskip(NEXT) | instid1(TRANS32_DEP_1)
	v_s_rcp_f32 s2, s2
	s_mul_f32 s2, s2, 0x5f7ffffc
	s_delay_alu instid0(SALU_CYCLE_3) | instskip(NEXT) | instid1(SALU_CYCLE_3)
	s_mul_f32 s33, s2, 0x2f800000
	s_trunc_f32 s33, s33
	s_delay_alu instid0(SALU_CYCLE_3) | instskip(SKIP_1) | instid1(SALU_CYCLE_2)
	s_fmamk_f32 s2, s33, 0xcf800000, s2
	s_cvt_u32_f32 s37, s33
	s_cvt_u32_f32 s36, s2
	s_delay_alu instid0(SALU_CYCLE_3) | instskip(NEXT) | instid1(SALU_CYCLE_1)
	s_mul_u64 s[40:41], s[38:39], s[36:37]
	s_mul_hi_u32 s45, s36, s41
	s_mul_i32 s44, s36, s41
	s_mul_hi_u32 s42, s36, s40
	s_mul_i32 s33, s37, s40
	s_add_nc_u64 s[44:45], s[42:43], s[44:45]
	s_mul_hi_u32 s2, s37, s40
	s_mul_hi_u32 s46, s37, s41
	s_add_co_u32 s33, s44, s33
	s_add_co_ci_u32 s42, s45, s2
	s_mul_i32 s40, s37, s41
	s_add_co_ci_u32 s41, s46, 0
	s_delay_alu instid0(SALU_CYCLE_1) | instskip(NEXT) | instid1(SALU_CYCLE_1)
	s_add_nc_u64 s[40:41], s[42:43], s[40:41]
	s_add_co_u32 s36, s36, s40
	s_cselect_b32 s2, -1, 0
	s_delay_alu instid0(SALU_CYCLE_1) | instskip(SKIP_1) | instid1(SALU_CYCLE_1)
	s_cmp_lg_u32 s2, 0
	s_add_co_ci_u32 s37, s37, s41
	s_mul_u64 s[38:39], s[38:39], s[36:37]
	s_delay_alu instid0(SALU_CYCLE_1)
	s_mul_hi_u32 s41, s36, s39
	s_mul_i32 s40, s36, s39
	s_mul_hi_u32 s42, s36, s38
	s_mul_i32 s33, s37, s38
	s_add_nc_u64 s[40:41], s[42:43], s[40:41]
	s_mul_hi_u32 s2, s37, s38
	s_mul_hi_u32 s44, s37, s39
	s_add_co_u32 s33, s40, s33
	s_add_co_ci_u32 s42, s41, s2
	s_mul_i32 s38, s37, s39
	s_add_co_ci_u32 s39, s44, 0
	s_delay_alu instid0(SALU_CYCLE_1) | instskip(NEXT) | instid1(SALU_CYCLE_1)
	s_add_nc_u64 s[38:39], s[42:43], s[38:39]
	s_add_co_u32 s2, s36, s38
	s_cselect_b32 s33, -1, 0
	v_nop
	v_mul_hi_u32 v14, v4, s2
	s_cmp_lg_u32 s33, 0
	s_add_co_ci_u32 s42, s37, s39
	s_mov_b64 s[36:37], 0xffffffff
	v_mul_u64_e32 v[6:7], s[42:43], v[6:7]
	s_and_b64 s[36:37], s[2:3], s[36:37]
	s_delay_alu instid0(SALU_CYCLE_1) | instskip(SKIP_1) | instid1(VALU_DEP_3)
	v_mul_u64_e32 v[12:13], s[36:37], v[10:11]
	v_mul_u64_e32 v[10:11], s[42:43], v[10:11]
	v_add_nc_u64_e32 v[6:7], v[14:15], v[6:7]
	s_delay_alu instid0(VALU_DEP_1) | instskip(NEXT) | instid1(VALU_DEP_2)
	v_add_co_u32 v6, vcc_lo, v6, v12
	v_add_co_ci_u32_e32 v8, vcc_lo, v7, v13, vcc_lo
	s_delay_alu instid0(VALU_DEP_4) | instskip(NEXT) | instid1(VALU_DEP_1)
	v_add_co_ci_u32_e32 v11, vcc_lo, 0, v11, vcc_lo
	v_add_nc_u64_e32 v[6:7], v[8:9], v[10:11]
	s_delay_alu instid0(VALU_DEP_1) | instskip(NEXT) | instid1(VALU_DEP_1)
	v_mul_u64_e32 v[8:9], s[18:19], v[6:7]
	v_sub_nc_u32_e32 v10, v5, v9
	s_delay_alu instid0(VALU_DEP_2) | instskip(NEXT) | instid1(VALU_DEP_1)
	v_sub_co_u32 v8, vcc_lo, v4, v8
	v_sub_co_ci_u32_e64 v15, null, v5, v9, vcc_lo
	s_delay_alu instid0(VALU_DEP_3) | instskip(NEXT) | instid1(VALU_DEP_3)
	v_subrev_co_ci_u32_e64 v10, null, s19, v10, vcc_lo
	v_sub_co_u32 v12, s2, v8, s18
	v_cmp_le_u32_e32 vcc_lo, s18, v8
	s_delay_alu instid0(VALU_DEP_3) | instskip(NEXT) | instid1(VALU_DEP_3)
	v_subrev_co_ci_u32_e64 v13, null, 0, v10, s2
	v_cmp_le_u32_e64 s2, s18, v12
	v_add_nc_u64_e32 v[10:11], 2, v[6:7]
	v_cndmask_b32_e64 v16, 0, -1, vcc_lo
	s_delay_alu instid0(VALU_DEP_4) | instskip(SKIP_3) | instid1(VALU_DEP_1)
	v_cmp_eq_u32_e32 vcc_lo, s19, v13
	v_add_nc_u64_e32 v[8:9], 1, v[6:7]
	v_cndmask_b32_e64 v12, 0, -1, s2
	v_cmp_le_u32_e64 s2, s19, v13
	v_cndmask_b32_e64 v14, 0, -1, s2
	v_cmp_eq_u32_e64 s2, s19, v15
	s_delay_alu instid0(VALU_DEP_2) | instskip(SKIP_2) | instid1(VALU_DEP_3)
	v_cndmask_b32_e32 v12, v14, v12, vcc_lo
	v_cmp_le_u32_e32 vcc_lo, s19, v15
	v_cndmask_b32_e64 v13, 0, -1, vcc_lo
	v_cmp_ne_u32_e32 vcc_lo, 0, v12
	s_delay_alu instid0(VALU_DEP_2) | instskip(SKIP_1) | instid1(VALU_DEP_2)
	v_dual_cndmask_b32 v12, v13, v16, s2 :: v_dual_cndmask_b32 v8, v8, v10, vcc_lo
	v_cndmask_b32_e32 v9, v9, v11, vcc_lo
	v_cmp_ne_u32_e32 vcc_lo, 0, v12
	s_delay_alu instid0(VALU_DEP_2)
	v_dual_cndmask_b32 v6, v6, v8 :: v_dual_cndmask_b32 v7, v7, v9
.LBB1_10:
	s_and_not1_saveexec_b32 s2, s3
	s_cbranch_execz .LBB1_12
; %bb.11:
	v_cvt_f32_u32_e32 v6, s18
	s_sub_co_i32 s3, 0, s18
	s_delay_alu instid0(VALU_DEP_1) | instskip(SKIP_1) | instid1(TRANS32_DEP_1)
	v_rcp_iflag_f32_e32 v6, v6
	v_nop
	v_mul_f32_e32 v6, 0x4f7ffffe, v6
	s_delay_alu instid0(VALU_DEP_1) | instskip(NEXT) | instid1(VALU_DEP_1)
	v_cvt_u32_f32_e32 v6, v6
	v_mul_lo_u32 v7, s3, v6
	s_delay_alu instid0(VALU_DEP_1) | instskip(NEXT) | instid1(VALU_DEP_1)
	v_mul_hi_u32 v7, v6, v7
	v_add_nc_u32_e32 v6, v6, v7
	s_delay_alu instid0(VALU_DEP_1) | instskip(NEXT) | instid1(VALU_DEP_1)
	v_mul_hi_u32 v6, v4, v6
	v_mul_lo_u32 v7, v6, s18
	s_delay_alu instid0(VALU_DEP_1) | instskip(NEXT) | instid1(VALU_DEP_1)
	v_dual_add_nc_u32 v8, 1, v6 :: v_dual_sub_nc_u32 v7, v4, v7
	v_subrev_nc_u32_e32 v9, s18, v7
	v_cmp_le_u32_e32 vcc_lo, s18, v7
	s_delay_alu instid0(VALU_DEP_2) | instskip(NEXT) | instid1(VALU_DEP_1)
	v_dual_cndmask_b32 v7, v7, v9 :: v_dual_cndmask_b32 v6, v6, v8
	v_cmp_le_u32_e32 vcc_lo, s18, v7
	s_delay_alu instid0(VALU_DEP_2) | instskip(NEXT) | instid1(VALU_DEP_1)
	v_dual_mov_b32 v7, 0 :: v_dual_add_nc_u32 v8, 1, v6
	v_cndmask_b32_e32 v6, v6, v8, vcc_lo
.LBB1_12:
	s_or_b32 exec_lo, exec_lo, s2
	s_delay_alu instid0(VALU_DEP_1) | instskip(SKIP_1) | instid1(VALU_DEP_1)
	v_dual_mov_b32 v10, 0 :: v_dual_bitop2_b32 v11, s17, v7 bitop3:0x54
                                        ; implicit-def: $vgpr8_vgpr9
	s_mov_b32 s2, exec_lo
	v_cmpx_ne_u64_e32 0, v[10:11]
	s_xor_b32 s3, exec_lo, s2
	s_cbranch_execnz .LBB1_16
; %bb.13:
	s_and_not1_saveexec_b32 s2, s3
	s_cbranch_execnz .LBB1_17
.LBB1_14:
	s_or_b32 exec_lo, exec_lo, s2
	s_delay_alu instid0(SALU_CYCLE_1)
	s_mov_b32 s2, exec_lo
	v_cmpx_gt_u64_e64 s[14:15], v[8:9]
	s_cbranch_execnz .LBB1_18
.LBB1_15:
	s_endpgm
.LBB1_16:
	s_cvt_f32_u32 s2, s16
	s_cvt_f32_u32 s33, s17
	s_sub_nc_u64 s[38:39], 0, s[16:17]
	s_mov_b32 s43, 0
	v_dual_mov_b32 v8, v6 :: v_dual_mov_b32 v9, v10
	s_fmamk_f32 s2, s33, 0x4f800000, s2
	v_dual_mov_b32 v12, v7 :: v_dual_mov_b32 v13, v10
	v_dual_mov_b32 v17, v10 :: v_dual_mov_b32 v11, v10
	s_delay_alu instid0(SALU_CYCLE_1) | instskip(NEXT) | instid1(TRANS32_DEP_1)
	v_s_rcp_f32 s2, s2
	s_mul_f32 s2, s2, 0x5f7ffffc
	s_delay_alu instid0(SALU_CYCLE_3) | instskip(NEXT) | instid1(SALU_CYCLE_3)
	s_mul_f32 s33, s2, 0x2f800000
	s_trunc_f32 s33, s33
	s_delay_alu instid0(SALU_CYCLE_3) | instskip(SKIP_1) | instid1(SALU_CYCLE_2)
	s_fmamk_f32 s2, s33, 0xcf800000, s2
	s_cvt_u32_f32 s37, s33
	s_cvt_u32_f32 s36, s2
	s_delay_alu instid0(SALU_CYCLE_3) | instskip(NEXT) | instid1(SALU_CYCLE_1)
	s_mul_u64 s[40:41], s[38:39], s[36:37]
	s_mul_hi_u32 s45, s36, s41
	s_mul_i32 s44, s36, s41
	s_mul_hi_u32 s42, s36, s40
	s_mul_i32 s33, s37, s40
	s_add_nc_u64 s[44:45], s[42:43], s[44:45]
	s_mul_hi_u32 s2, s37, s40
	s_mul_hi_u32 s46, s37, s41
	s_add_co_u32 s33, s44, s33
	s_add_co_ci_u32 s42, s45, s2
	s_mul_i32 s40, s37, s41
	s_add_co_ci_u32 s41, s46, 0
	s_delay_alu instid0(SALU_CYCLE_1) | instskip(NEXT) | instid1(SALU_CYCLE_1)
	s_add_nc_u64 s[40:41], s[42:43], s[40:41]
	s_add_co_u32 s36, s36, s40
	s_cselect_b32 s2, -1, 0
	s_delay_alu instid0(SALU_CYCLE_1) | instskip(SKIP_1) | instid1(SALU_CYCLE_1)
	s_cmp_lg_u32 s2, 0
	s_add_co_ci_u32 s37, s37, s41
	s_mul_u64 s[38:39], s[38:39], s[36:37]
	s_delay_alu instid0(SALU_CYCLE_1)
	s_mul_hi_u32 s41, s36, s39
	s_mul_i32 s40, s36, s39
	s_mul_hi_u32 s42, s36, s38
	s_mul_i32 s33, s37, s38
	s_add_nc_u64 s[40:41], s[42:43], s[40:41]
	s_mul_hi_u32 s2, s37, s38
	s_mul_hi_u32 s44, s37, s39
	s_add_co_u32 s33, s40, s33
	s_add_co_ci_u32 s42, s41, s2
	s_mul_i32 s38, s37, s39
	s_add_co_ci_u32 s39, s44, 0
	s_delay_alu instid0(SALU_CYCLE_1) | instskip(NEXT) | instid1(SALU_CYCLE_1)
	s_add_nc_u64 s[38:39], s[42:43], s[38:39]
	s_add_co_u32 s2, s36, s38
	s_cselect_b32 s33, -1, 0
	v_nop
	v_mul_hi_u32 v16, v6, s2
	s_cmp_lg_u32 s33, 0
	s_add_co_ci_u32 s42, s37, s39
	s_mov_b64 s[36:37], 0xffffffff
	v_mul_u64_e32 v[8:9], s[42:43], v[8:9]
	s_and_b64 s[36:37], s[2:3], s[36:37]
	s_delay_alu instid0(SALU_CYCLE_1) | instskip(SKIP_1) | instid1(VALU_DEP_3)
	v_mul_u64_e32 v[14:15], s[36:37], v[12:13]
	v_mul_u64_e32 v[12:13], s[42:43], v[12:13]
	v_add_nc_u64_e32 v[8:9], v[16:17], v[8:9]
	s_delay_alu instid0(VALU_DEP_1) | instskip(NEXT) | instid1(VALU_DEP_2)
	v_add_co_u32 v8, vcc_lo, v8, v14
	v_add_co_ci_u32_e32 v10, vcc_lo, v9, v15, vcc_lo
	s_delay_alu instid0(VALU_DEP_4) | instskip(NEXT) | instid1(VALU_DEP_1)
	v_add_co_ci_u32_e32 v13, vcc_lo, 0, v13, vcc_lo
	v_add_nc_u64_e32 v[8:9], v[10:11], v[12:13]
	s_delay_alu instid0(VALU_DEP_1) | instskip(NEXT) | instid1(VALU_DEP_1)
	v_mul_u64_e32 v[10:11], s[16:17], v[8:9]
	v_sub_nc_u32_e32 v12, v7, v11
	s_delay_alu instid0(VALU_DEP_2) | instskip(NEXT) | instid1(VALU_DEP_1)
	v_sub_co_u32 v10, vcc_lo, v6, v10
	v_sub_co_ci_u32_e64 v17, null, v7, v11, vcc_lo
	s_delay_alu instid0(VALU_DEP_3) | instskip(NEXT) | instid1(VALU_DEP_3)
	v_subrev_co_ci_u32_e64 v12, null, s17, v12, vcc_lo
	v_sub_co_u32 v14, s2, v10, s16
	v_cmp_le_u32_e32 vcc_lo, s16, v10
	s_delay_alu instid0(VALU_DEP_3) | instskip(NEXT) | instid1(VALU_DEP_3)
	v_subrev_co_ci_u32_e64 v15, null, 0, v12, s2
	v_cmp_le_u32_e64 s2, s16, v14
	v_add_nc_u64_e32 v[12:13], 2, v[8:9]
	v_cndmask_b32_e64 v18, 0, -1, vcc_lo
	s_delay_alu instid0(VALU_DEP_4) | instskip(SKIP_3) | instid1(VALU_DEP_1)
	v_cmp_eq_u32_e32 vcc_lo, s17, v15
	v_add_nc_u64_e32 v[10:11], 1, v[8:9]
	v_cndmask_b32_e64 v14, 0, -1, s2
	v_cmp_le_u32_e64 s2, s17, v15
	v_cndmask_b32_e64 v16, 0, -1, s2
	v_cmp_eq_u32_e64 s2, s17, v17
	s_delay_alu instid0(VALU_DEP_2) | instskip(SKIP_2) | instid1(VALU_DEP_3)
	v_cndmask_b32_e32 v14, v16, v14, vcc_lo
	v_cmp_le_u32_e32 vcc_lo, s17, v17
	v_cndmask_b32_e64 v15, 0, -1, vcc_lo
	v_cmp_ne_u32_e32 vcc_lo, 0, v14
	s_delay_alu instid0(VALU_DEP_2) | instskip(SKIP_1) | instid1(VALU_DEP_2)
	v_dual_cndmask_b32 v14, v15, v18, s2 :: v_dual_cndmask_b32 v10, v10, v12, vcc_lo
	v_cndmask_b32_e32 v11, v11, v13, vcc_lo
	v_cmp_ne_u32_e32 vcc_lo, 0, v14
	s_delay_alu instid0(VALU_DEP_2)
	v_dual_cndmask_b32 v8, v8, v10 :: v_dual_cndmask_b32 v9, v9, v11
	s_and_not1_saveexec_b32 s2, s3
	s_cbranch_execz .LBB1_14
.LBB1_17:
	v_cvt_f32_u32_e32 v8, s16
	s_sub_co_i32 s3, 0, s16
	s_delay_alu instid0(VALU_DEP_1) | instskip(SKIP_1) | instid1(TRANS32_DEP_1)
	v_rcp_iflag_f32_e32 v8, v8
	v_nop
	v_mul_f32_e32 v8, 0x4f7ffffe, v8
	s_delay_alu instid0(VALU_DEP_1) | instskip(NEXT) | instid1(VALU_DEP_1)
	v_cvt_u32_f32_e32 v8, v8
	v_mul_lo_u32 v9, s3, v8
	s_delay_alu instid0(VALU_DEP_1) | instskip(NEXT) | instid1(VALU_DEP_1)
	v_mul_hi_u32 v9, v8, v9
	v_add_nc_u32_e32 v8, v8, v9
	s_delay_alu instid0(VALU_DEP_1) | instskip(NEXT) | instid1(VALU_DEP_1)
	v_mul_hi_u32 v8, v6, v8
	v_mul_lo_u32 v9, v8, s16
	s_delay_alu instid0(VALU_DEP_1) | instskip(NEXT) | instid1(VALU_DEP_1)
	v_dual_add_nc_u32 v10, 1, v8 :: v_dual_sub_nc_u32 v9, v6, v9
	v_subrev_nc_u32_e32 v11, s16, v9
	v_cmp_le_u32_e32 vcc_lo, s16, v9
	s_delay_alu instid0(VALU_DEP_2) | instskip(NEXT) | instid1(VALU_DEP_1)
	v_dual_cndmask_b32 v9, v9, v11 :: v_dual_cndmask_b32 v8, v8, v10
	v_cmp_le_u32_e32 vcc_lo, s16, v9
	s_delay_alu instid0(VALU_DEP_2) | instskip(NEXT) | instid1(VALU_DEP_1)
	v_dual_mov_b32 v9, 0 :: v_dual_add_nc_u32 v10, 1, v8
	v_cndmask_b32_e32 v8, v8, v10, vcc_lo
	s_or_b32 exec_lo, exec_lo, s2
	s_delay_alu instid0(SALU_CYCLE_1) | instskip(NEXT) | instid1(VALU_DEP_1)
	s_mov_b32 s2, exec_lo
	v_cmpx_gt_u64_e64 s[14:15], v[8:9]
	s_cbranch_execz .LBB1_15
.LBB1_18:
	v_mul_u64_e32 v[10:11], s[22:23], v[2:3]
	v_mul_u64_e32 v[12:13], s[20:21], v[4:5]
	;; [unrolled: 1-line block ×6, first 2 shown]
	v_sub_nc_u64_e32 v[0:1], v[0:1], v[10:11]
	v_sub_nc_u64_e32 v[2:3], v[2:3], v[12:13]
	;; [unrolled: 1-line block ×4, first 2 shown]
	s_delay_alu instid0(VALU_DEP_4)
	v_mul_u64_e32 v[10:11], s[12:13], v[0:1]
	v_mul_u64_e32 v[12:13], s[34:35], v[0:1]
	;; [unrolled: 1-line block ×6, first 2 shown]
	s_load_b256 s[8:15], s[0:1], 0x0
	v_mul_u64_e32 v[22:23], s[6:7], v[6:7]
	v_mul_u64_e32 v[24:25], s[26:27], v[6:7]
	s_wait_kmcnt 0x0
	v_lshl_add_u64 v[10:11], v[10:11], 2, s[8:9]
	v_lshl_add_u64 v[12:13], v[12:13], 2, s[10:11]
	s_delay_alu instid0(VALU_DEP_2) | instskip(NEXT) | instid1(VALU_DEP_2)
	v_lshl_add_u64 v[10:11], v[14:15], 2, v[10:11]
	v_lshl_add_u64 v[12:13], v[18:19], 2, v[12:13]
	s_delay_alu instid0(VALU_DEP_2) | instskip(NEXT) | instid1(VALU_DEP_2)
	;; [unrolled: 3-line block ×4, first 2 shown]
	v_lshl_add_u64 v[10:11], v[26:27], 2, v[10:11]
	v_lshl_add_u64 v[12:13], v[28:29], 2, v[12:13]
	global_load_b32 v20, v[10:11], off
	global_load_b32 v21, v[12:13], off
	s_clause 0x1
	s_load_b64 s[2:3], s[0:1], 0xe8
	s_load_b256 s[4:11], s[0:1], 0xc8
	s_wait_kmcnt 0x0
	v_mul_u64_e32 v[10:11], s[2:3], v[0:1]
	v_mul_u64_e32 v[12:13], s[10:11], v[2:3]
	;; [unrolled: 1-line block ×5, first 2 shown]
	s_clause 0x1
	s_load_b64 s[2:3], s[0:1], 0x138
	s_load_b256 s[4:11], s[0:1], 0x118
	s_wait_kmcnt 0x0
	v_mul_u64_e32 v[0:1], s[2:3], v[0:1]
	v_mul_u64_e32 v[2:3], s[10:11], v[2:3]
	;; [unrolled: 1-line block ×5, first 2 shown]
	v_lshl_add_u64 v[10:11], v[10:11], 2, s[12:13]
	s_delay_alu instid0(VALU_DEP_1) | instskip(NEXT) | instid1(VALU_DEP_1)
	v_lshl_add_u64 v[10:11], v[12:13], 2, v[10:11]
	v_lshl_add_u64 v[10:11], v[14:15], 2, v[10:11]
	s_delay_alu instid0(VALU_DEP_1) | instskip(NEXT) | instid1(VALU_DEP_1)
	v_lshl_add_u64 v[10:11], v[16:17], 2, v[10:11]
	v_lshl_add_u64 v[10:11], v[18:19], 2, v[10:11]
	;; [unrolled: 1-line block ×3, first 2 shown]
	global_load_b32 v10, v[10:11], off
	v_lshl_add_u64 v[0:1], v[2:3], 2, v[0:1]
	s_delay_alu instid0(VALU_DEP_1) | instskip(NEXT) | instid1(VALU_DEP_1)
	v_lshl_add_u64 v[0:1], v[4:5], 2, v[0:1]
	v_lshl_add_u64 v[0:1], v[6:7], 2, v[0:1]
	s_delay_alu instid0(VALU_DEP_1) | instskip(SKIP_3) | instid1(VALU_DEP_1)
	v_lshl_add_u64 v[0:1], v[8:9], 2, v[0:1]
	s_wait_loadcnt 0x1
	s_wait_xcnt 0x0
	v_mul_f32_e32 v11, v20, v21
	v_mul_f32_e32 v12, 0x3fb8aa3b, v11
	v_cmp_ngt_f32_e32 vcc_lo, 0xc2ce8ed0, v11
	s_delay_alu instid0(VALU_DEP_2) | instskip(SKIP_1) | instid1(VALU_DEP_1)
	v_fma_f32 v13, 0x3fb8aa3b, v11, -v12
	v_rndne_f32_e32 v14, v12
	v_dual_fmamk_f32 v13, v11, 0x32a5705f, v13 :: v_dual_sub_f32 v12, v12, v14
	s_delay_alu instid0(VALU_DEP_1) | instskip(SKIP_1) | instid1(VALU_DEP_2)
	v_add_f32_e32 v12, v12, v13
	v_cvt_i32_f32_e32 v13, v14
	v_exp_f32_e32 v12, v12
	v_nop
	s_delay_alu instid0(TRANS32_DEP_1) | instskip(NEXT) | instid1(VALU_DEP_1)
	v_ldexp_f32 v12, v12, v13
	v_cndmask_b32_e32 v12, 0, v12, vcc_lo
	v_cmp_nlt_f32_e32 vcc_lo, 0x42b17218, v11
	s_delay_alu instid0(VALU_DEP_2) | instskip(NEXT) | instid1(VALU_DEP_1)
	v_cndmask_b32_e32 v11, 0x7f800000, v12, vcc_lo
	v_add_f32_e32 v11, 1.0, v11
	s_delay_alu instid0(VALU_DEP_1) | instskip(SKIP_1) | instid1(VALU_DEP_2)
	v_div_scale_f32 v12, null, v11, v11, -v21
	v_div_scale_f32 v15, vcc_lo, -v21, v11, -v21
	v_rcp_f32_e32 v13, v12
	v_nop
	s_delay_alu instid0(TRANS32_DEP_1) | instskip(NEXT) | instid1(VALU_DEP_1)
	v_fma_f32 v14, -v12, v13, 1.0
	v_fmac_f32_e32 v13, v14, v13
	s_delay_alu instid0(VALU_DEP_1) | instskip(NEXT) | instid1(VALU_DEP_1)
	v_mul_f32_e32 v14, v15, v13
	v_fma_f32 v16, -v12, v14, v15
	s_delay_alu instid0(VALU_DEP_1) | instskip(NEXT) | instid1(VALU_DEP_1)
	v_fmac_f32_e32 v14, v16, v13
	v_fma_f32 v12, -v12, v14, v15
	s_delay_alu instid0(VALU_DEP_1) | instskip(NEXT) | instid1(VALU_DEP_1)
	v_div_fmas_f32 v2, v12, v13, v14
	v_div_fixup_f32 v2, v2, v11, -v21
	s_wait_loadcnt 0x0
	s_delay_alu instid0(VALU_DEP_1)
	v_mul_f32_e32 v2, v10, v2
	global_store_b32 v[0:1], v2, off
	s_endpgm
	.section	.rodata,"a",@progbits
	.p2align	6, 0x0
	.amdhsa_kernel SoftMarginLossBackward5d
		.amdhsa_group_segment_fixed_size 0
		.amdhsa_private_segment_fixed_size 0
		.amdhsa_kernarg_size 616
		.amdhsa_user_sgpr_count 2
		.amdhsa_user_sgpr_dispatch_ptr 0
		.amdhsa_user_sgpr_queue_ptr 0
		.amdhsa_user_sgpr_kernarg_segment_ptr 1
		.amdhsa_user_sgpr_dispatch_id 0
		.amdhsa_user_sgpr_kernarg_preload_length 0
		.amdhsa_user_sgpr_kernarg_preload_offset 0
		.amdhsa_user_sgpr_private_segment_size 0
		.amdhsa_wavefront_size32 1
		.amdhsa_uses_dynamic_stack 0
		.amdhsa_enable_private_segment 0
		.amdhsa_system_sgpr_workgroup_id_x 1
		.amdhsa_system_sgpr_workgroup_id_y 0
		.amdhsa_system_sgpr_workgroup_id_z 0
		.amdhsa_system_sgpr_workgroup_info 0
		.amdhsa_system_vgpr_workitem_id 0
		.amdhsa_next_free_vgpr 30
		.amdhsa_next_free_sgpr 47
		.amdhsa_named_barrier_count 0
		.amdhsa_reserve_vcc 1
		.amdhsa_float_round_mode_32 0
		.amdhsa_float_round_mode_16_64 0
		.amdhsa_float_denorm_mode_32 3
		.amdhsa_float_denorm_mode_16_64 3
		.amdhsa_fp16_overflow 0
		.amdhsa_memory_ordered 1
		.amdhsa_forward_progress 1
		.amdhsa_inst_pref_size 29
		.amdhsa_round_robin_scheduling 0
		.amdhsa_exception_fp_ieee_invalid_op 0
		.amdhsa_exception_fp_denorm_src 0
		.amdhsa_exception_fp_ieee_div_zero 0
		.amdhsa_exception_fp_ieee_overflow 0
		.amdhsa_exception_fp_ieee_underflow 0
		.amdhsa_exception_fp_ieee_inexact 0
		.amdhsa_exception_int_div_zero 0
	.end_amdhsa_kernel
	.text
.Lfunc_end1:
	.size	SoftMarginLossBackward5d, .Lfunc_end1-SoftMarginLossBackward5d
                                        ; -- End function
	.set SoftMarginLossBackward5d.num_vgpr, 30
	.set SoftMarginLossBackward5d.num_agpr, 0
	.set SoftMarginLossBackward5d.numbered_sgpr, 47
	.set SoftMarginLossBackward5d.num_named_barrier, 0
	.set SoftMarginLossBackward5d.private_seg_size, 0
	.set SoftMarginLossBackward5d.uses_vcc, 1
	.set SoftMarginLossBackward5d.uses_flat_scratch, 0
	.set SoftMarginLossBackward5d.has_dyn_sized_stack, 0
	.set SoftMarginLossBackward5d.has_recursion, 0
	.set SoftMarginLossBackward5d.has_indirect_call, 0
	.section	.AMDGPU.csdata,"",@progbits
; Kernel info:
; codeLenInByte = 3596
; TotalNumSgprs: 49
; NumVgprs: 30
; ScratchSize: 0
; MemoryBound: 0
; FloatMode: 240
; IeeeMode: 1
; LDSByteSize: 0 bytes/workgroup (compile time only)
; SGPRBlocks: 0
; VGPRBlocks: 1
; NumSGPRsForWavesPerEU: 49
; NumVGPRsForWavesPerEU: 30
; NamedBarCnt: 0
; Occupancy: 16
; WaveLimiterHint : 1
; COMPUTE_PGM_RSRC2:SCRATCH_EN: 0
; COMPUTE_PGM_RSRC2:USER_SGPR: 2
; COMPUTE_PGM_RSRC2:TRAP_HANDLER: 0
; COMPUTE_PGM_RSRC2:TGID_X_EN: 1
; COMPUTE_PGM_RSRC2:TGID_Y_EN: 0
; COMPUTE_PGM_RSRC2:TGID_Z_EN: 0
; COMPUTE_PGM_RSRC2:TIDIG_COMP_CNT: 0
	.text
	.p2alignl 7, 3214868480
	.fill 96, 4, 3214868480
	.section	.AMDGPU.gpr_maximums,"",@progbits
	.set amdgpu.max_num_vgpr, 0
	.set amdgpu.max_num_agpr, 0
	.set amdgpu.max_num_sgpr, 0
	.text
	.type	__hip_cuid_6f9e21d569372cdc,@object ; @__hip_cuid_6f9e21d569372cdc
	.section	.bss,"aw",@nobits
	.globl	__hip_cuid_6f9e21d569372cdc
__hip_cuid_6f9e21d569372cdc:
	.byte	0                               ; 0x0
	.size	__hip_cuid_6f9e21d569372cdc, 1

	.ident	"AMD clang version 22.0.0git (https://github.com/RadeonOpenCompute/llvm-project roc-7.2.4 26084 f58b06dce1f9c15707c5f808fd002e18c2accf7e)"
	.section	".note.GNU-stack","",@progbits
	.addrsig
	.addrsig_sym __hip_cuid_6f9e21d569372cdc
	.amdgpu_metadata
---
amdhsa.kernels:
  - .args:
      - .actual_access:  read_only
        .address_space:  global
        .offset:         0
        .size:           8
        .value_kind:     global_buffer
      - .actual_access:  read_only
        .address_space:  global
        .offset:         8
        .size:           8
        .value_kind:     global_buffer
      - .actual_access:  write_only
        .address_space:  global
        .offset:         16
        .size:           8
        .value_kind:     global_buffer
      - .offset:         24
        .size:           8
        .value_kind:     by_value
      - .offset:         32
        .size:           80
        .value_kind:     by_value
      - .offset:         112
        .size:           80
        .value_kind:     by_value
      - .offset:         192
        .size:           80
        .value_kind:     by_value
      - .offset:         272
        .size:           4
        .value_kind:     hidden_block_count_x
      - .offset:         276
        .size:           4
        .value_kind:     hidden_block_count_y
      - .offset:         280
        .size:           4
        .value_kind:     hidden_block_count_z
      - .offset:         284
        .size:           2
        .value_kind:     hidden_group_size_x
      - .offset:         286
        .size:           2
        .value_kind:     hidden_group_size_y
      - .offset:         288
        .size:           2
        .value_kind:     hidden_group_size_z
      - .offset:         290
        .size:           2
        .value_kind:     hidden_remainder_x
      - .offset:         292
        .size:           2
        .value_kind:     hidden_remainder_y
      - .offset:         294
        .size:           2
        .value_kind:     hidden_remainder_z
      - .offset:         312
        .size:           8
        .value_kind:     hidden_global_offset_x
      - .offset:         320
        .size:           8
        .value_kind:     hidden_global_offset_y
      - .offset:         328
        .size:           8
        .value_kind:     hidden_global_offset_z
      - .offset:         336
        .size:           2
        .value_kind:     hidden_grid_dims
    .group_segment_fixed_size: 0
    .kernarg_segment_align: 8
    .kernarg_segment_size: 528
    .language:       OpenCL C
    .language_version:
      - 2
      - 0
    .max_flat_workgroup_size: 1024
    .name:           SoftMarginLossForward5d
    .private_segment_fixed_size: 0
    .sgpr_count:     49
    .sgpr_spill_count: 0
    .symbol:         SoftMarginLossForward5d.kd
    .uniform_work_group_size: 1
    .uses_dynamic_stack: false
    .vgpr_count:     30
    .vgpr_spill_count: 0
    .wavefront_size: 32
  - .args:
      - .actual_access:  read_only
        .address_space:  global
        .offset:         0
        .size:           8
        .value_kind:     global_buffer
      - .actual_access:  read_only
        .address_space:  global
        .offset:         8
        .size:           8
        .value_kind:     global_buffer
      - .actual_access:  read_only
        .address_space:  global
        .offset:         16
        .size:           8
        .value_kind:     global_buffer
      - .actual_access:  write_only
        .address_space:  global
        .offset:         24
        .size:           8
        .value_kind:     global_buffer
      - .offset:         32
        .size:           8
        .value_kind:     by_value
      - .offset:         40
        .size:           80
        .value_kind:     by_value
      - .offset:         120
        .size:           80
        .value_kind:     by_value
      - .offset:         200
        .size:           80
        .value_kind:     by_value
      - .offset:         280
        .size:           80
        .value_kind:     by_value
      - .offset:         360
        .size:           4
        .value_kind:     hidden_block_count_x
      - .offset:         364
        .size:           4
        .value_kind:     hidden_block_count_y
      - .offset:         368
        .size:           4
        .value_kind:     hidden_block_count_z
      - .offset:         372
        .size:           2
        .value_kind:     hidden_group_size_x
      - .offset:         374
        .size:           2
        .value_kind:     hidden_group_size_y
      - .offset:         376
        .size:           2
        .value_kind:     hidden_group_size_z
      - .offset:         378
        .size:           2
        .value_kind:     hidden_remainder_x
      - .offset:         380
        .size:           2
        .value_kind:     hidden_remainder_y
      - .offset:         382
        .size:           2
        .value_kind:     hidden_remainder_z
      - .offset:         400
        .size:           8
        .value_kind:     hidden_global_offset_x
      - .offset:         408
        .size:           8
        .value_kind:     hidden_global_offset_y
      - .offset:         416
        .size:           8
        .value_kind:     hidden_global_offset_z
      - .offset:         424
        .size:           2
        .value_kind:     hidden_grid_dims
    .group_segment_fixed_size: 0
    .kernarg_segment_align: 8
    .kernarg_segment_size: 616
    .language:       OpenCL C
    .language_version:
      - 2
      - 0
    .max_flat_workgroup_size: 1024
    .name:           SoftMarginLossBackward5d
    .private_segment_fixed_size: 0
    .sgpr_count:     49
    .sgpr_spill_count: 0
    .symbol:         SoftMarginLossBackward5d.kd
    .uniform_work_group_size: 1
    .uses_dynamic_stack: false
    .vgpr_count:     30
    .vgpr_spill_count: 0
    .wavefront_size: 32
amdhsa.target:   amdgcn-amd-amdhsa--gfx1250
amdhsa.version:
  - 1
  - 2
...

	.end_amdgpu_metadata
